;; amdgpu-corpus repo=ROCm/rocFFT kind=compiled arch=gfx950 opt=O3
	.text
	.amdgcn_target "amdgcn-amd-amdhsa--gfx950"
	.amdhsa_code_object_version 6
	.protected	bluestein_single_fwd_len935_dim1_dp_op_CI_CI ; -- Begin function bluestein_single_fwd_len935_dim1_dp_op_CI_CI
	.globl	bluestein_single_fwd_len935_dim1_dp_op_CI_CI
	.p2align	8
	.type	bluestein_single_fwd_len935_dim1_dp_op_CI_CI,@function
bluestein_single_fwd_len935_dim1_dp_op_CI_CI: ; @bluestein_single_fwd_len935_dim1_dp_op_CI_CI
; %bb.0:
	s_load_dwordx4 s[4:7], s[0:1], 0x28
	v_mul_u32_u24_e32 v1, 0x304, v0
	v_lshrrev_b32_e32 v2, 16, v1
	v_mad_u64_u32 v[4:5], s[2:3], s2, 3, v[2:3]
	v_mov_b32_e32 v145, 0
	v_mov_b32_e32 v5, v145
	s_waitcnt lgkmcnt(0)
	v_cmp_gt_u64_e32 vcc, s[4:5], v[4:5]
	s_and_saveexec_b64 s[2:3], vcc
	s_cbranch_execz .LBB0_23
; %bb.1:
	v_mul_lo_u16_e32 v1, 0x55, v2
	s_mov_b32 s2, 0xaaaaaaab
	v_sub_u16_e32 v144, v0, v1
	v_mul_hi_u32 v0, v4, s2
	v_lshrrev_b32_e32 v0, 1, v0
	s_load_dwordx2 s[12:13], s[0:1], 0x0
	s_load_dwordx2 s[14:15], s[0:1], 0x38
	v_lshl_add_u32 v0, v0, 1, v0
	v_sub_u32_e32 v0, v4, v0
	v_mul_u32_u24_e32 v1, 0x3a7, v0
	v_lshlrev_b32_e32 v0, 4, v144
	v_accvgpr_write_b32 a0, v0
	v_lshlrev_b32_e32 v0, 4, v1
	v_accvgpr_write_b32 a4, v4
	v_cmp_gt_u16_e64 s[4:5], 55, v144
	v_accvgpr_write_b32 a1, v1
	v_accvgpr_write_b32 a5, v0
	s_and_saveexec_b64 s[2:3], s[4:5]
	s_cbranch_execz .LBB0_3
; %bb.2:
	s_load_dwordx2 s[8:9], s[0:1], 0x18
	v_accvgpr_read_b32 v10, a4
	v_mov_b32_e32 v0, s6
	v_mov_b32_e32 v1, s7
	v_accvgpr_read_b32 v142, a0
	s_waitcnt lgkmcnt(0)
	s_load_dwordx4 s[8:11], s[8:9], 0x0
	v_mov_b32_e32 v143, 0
	v_mov_b32_e32 v37, 0x370
	v_lshl_add_u64 v[108:109], s[12:13], 0, v[142:143]
	v_accvgpr_read_b32 v146, a5
	s_waitcnt lgkmcnt(0)
	v_mad_u64_u32 v[2:3], s[6:7], s10, v10, 0
	v_mad_u64_u32 v[4:5], s[6:7], s8, v144, 0
	v_mov_b32_e32 v6, v3
	v_mov_b32_e32 v8, v5
	v_mad_u64_u32 v[6:7], s[6:7], s11, v10, v[6:7]
	v_mov_b32_e32 v3, v6
	v_mad_u64_u32 v[6:7], s[6:7], s9, v144, v[8:9]
	v_mov_b32_e32 v5, v6
	v_lshl_add_u64 v[0:1], v[2:3], 4, v[0:1]
	v_lshl_add_u64 v[24:25], v[4:5], 4, v[0:1]
	s_movk_i32 s6, 0x1000
	global_load_dwordx4 v[0:3], v[24:25], off
	global_load_dwordx4 v[4:7], v142, s[12:13]
	v_add_co_u32_e32 v58, vcc, s6, v108
	s_mul_i32 s6, s9, 0x370
	v_mad_u64_u32 v[24:25], s[10:11], s8, v37, v[24:25]
	v_add_u32_e32 v25, s6, v25
	v_mad_u64_u32 v[60:61], s[10:11], s8, v37, v[24:25]
	v_addc_co_u32_e32 v59, vcc, 0, v109, vcc
	v_add_u32_e32 v61, s6, v61
	global_load_dwordx4 v[8:11], v142, s[12:13] offset:880
	global_load_dwordx4 v[12:15], v142, s[12:13] offset:1760
	;; [unrolled: 1-line block ×4, first 2 shown]
	s_movk_i32 s7, 0x2000
	global_load_dwordx4 v[38:41], v[58:59], off offset:304
	global_load_dwordx4 v[42:45], v[58:59], off offset:1184
	global_load_dwordx4 v[46:49], v[24:25], off
	global_load_dwordx4 v[50:53], v[58:59], off offset:2064
	global_load_dwordx4 v[32:35], v[58:59], off offset:2944
	v_mad_u64_u32 v[62:63], s[10:11], s8, v37, v[60:61]
	v_add_co_u32_e32 v118, vcc, s7, v108
	v_add_u32_e32 v63, s6, v63
	s_nop 0
	v_addc_co_u32_e32 v119, vcc, 0, v109, vcc
	global_load_dwordx4 v[54:57], v[60:61], off
	global_load_dwordx4 v[28:31], v[58:59], off offset:3824
	global_load_dwordx4 v[24:27], v[118:119], off offset:608
	v_mad_u64_u32 v[74:75], s[10:11], s8, v37, v[62:63]
	global_load_dwordx4 v[58:61], v[62:63], off
	v_add_u32_e32 v75, s6, v75
	v_mad_u64_u32 v[78:79], s[10:11], s8, v37, v[74:75]
	v_add_u32_e32 v79, s6, v79
	global_load_dwordx4 v[62:65], v[74:75], off
	global_load_dwordx4 v[66:69], v[118:119], off offset:1488
	global_load_dwordx4 v[70:73], v[118:119], off offset:2368
	v_mad_u64_u32 v[82:83], s[10:11], s8, v37, v[78:79]
	global_load_dwordx4 v[74:77], v[78:79], off
	v_add_u32_e32 v83, s6, v83
	global_load_dwordx4 v[78:81], v[82:83], off
	v_mad_u64_u32 v[86:87], s[10:11], s8, v37, v[82:83]
	v_add_u32_e32 v87, s6, v87
	global_load_dwordx4 v[82:85], v[86:87], off
	v_mad_u64_u32 v[90:91], s[10:11], s8, v37, v[86:87]
	;; [unrolled: 3-line block ×7, first 2 shown]
	v_add_u32_e32 v121, s6, v121
	s_movk_i32 s7, 0x3000
	global_load_dwordx4 v[110:113], v[120:121], off
	global_load_dwordx4 v[114:117], v[118:119], off offset:3248
	v_mad_u64_u32 v[126:127], s[10:11], s8, v37, v[120:121]
	v_add_co_u32_e32 v108, vcc, s7, v108
	v_add_u32_e32 v127, s6, v127
	s_nop 0
	v_addc_co_u32_e32 v109, vcc, 0, v109, vcc
	global_load_dwordx4 v[118:121], v[126:127], off
	global_load_dwordx4 v[122:125], v[108:109], off offset:32
	v_mad_u64_u32 v[134:135], s[10:11], s8, v37, v[126:127]
	v_add_u32_e32 v135, s6, v135
	global_load_dwordx4 v[126:129], v[134:135], off
	global_load_dwordx4 v[130:133], v[108:109], off offset:912
	v_mad_u64_u32 v[134:135], s[8:9], s8, v37, v[134:135]
	v_add_u32_e32 v135, s6, v135
	global_load_dwordx4 v[134:137], v[134:135], off
	s_nop 0
	global_load_dwordx4 v[138:141], v[108:109], off offset:1792
	s_waitcnt vmcnt(32)
	v_mul_f64 v[106:107], v[2:3], v[6:7]
	v_fmac_f64_e32 v[106:107], v[0:1], v[4:5]
	v_mul_f64 v[0:1], v[0:1], v[6:7]
	v_fma_f64 v[108:109], v[2:3], v[4:5], -v[0:1]
	v_lshl_add_u32 v36, v144, 4, v146
	v_add_u32_e32 v4, v146, v142
	ds_write_b128 v36, v[106:109]
	s_waitcnt vmcnt(25)
	v_mul_f64 v[0:1], v[48:49], v[10:11]
	v_mul_f64 v[2:3], v[46:47], v[10:11]
	v_fmac_f64_e32 v[0:1], v[46:47], v[8:9]
	v_fma_f64 v[2:3], v[48:49], v[8:9], -v[2:3]
	ds_write_b128 v4, v[0:3] offset:880
	s_waitcnt vmcnt(22)
	v_mul_f64 v[0:1], v[56:57], v[14:15]
	v_mul_f64 v[2:3], v[54:55], v[14:15]
	v_fmac_f64_e32 v[0:1], v[54:55], v[12:13]
	v_fma_f64 v[2:3], v[56:57], v[12:13], -v[2:3]
	ds_write_b128 v4, v[0:3] offset:1760
	;; [unrolled: 6-line block ×16, first 2 shown]
.LBB0_3:
	s_or_b64 exec, exec, s[2:3]
	s_load_dwordx2 s[2:3], s[0:1], 0x20
	s_load_dwordx2 s[6:7], s[0:1], 0x8
	s_waitcnt lgkmcnt(0)
	s_barrier
	s_waitcnt lgkmcnt(0)
                                        ; implicit-def: $vgpr8_vgpr9
                                        ; implicit-def: $vgpr12_vgpr13
                                        ; implicit-def: $vgpr16_vgpr17
                                        ; implicit-def: $vgpr20_vgpr21
                                        ; implicit-def: $vgpr24_vgpr25
                                        ; implicit-def: $vgpr28_vgpr29
                                        ; implicit-def: $vgpr32_vgpr33
                                        ; implicit-def: $vgpr36_vgpr37
                                        ; implicit-def: $vgpr40_vgpr41
                                        ; implicit-def: $vgpr44_vgpr45
                                        ; implicit-def: $vgpr48_vgpr49
                                        ; implicit-def: $vgpr52_vgpr53
                                        ; implicit-def: $vgpr56_vgpr57
                                        ; implicit-def: $vgpr60_vgpr61
                                        ; implicit-def: $vgpr64_vgpr65
                                        ; implicit-def: $vgpr68_vgpr69
                                        ; implicit-def: $vgpr72_vgpr73
	s_and_saveexec_b64 s[0:1], s[4:5]
	s_cbranch_execz .LBB0_5
; %bb.4:
	v_lshlrev_b32_e32 v0, 4, v144
	v_accvgpr_read_b32 v1, a1
	v_lshl_add_u32 v0, v1, 4, v0
	ds_read_b128 v[8:11], v0
	ds_read_b128 v[12:15], v0 offset:880
	ds_read_b128 v[16:19], v0 offset:1760
	;; [unrolled: 1-line block ×16, first 2 shown]
.LBB0_5:
	s_or_b64 exec, exec, s[0:1]
	s_mov_b32 s26, 0x5d8e7cdc
	s_waitcnt lgkmcnt(0)
	v_add_f64 v[84:85], v[14:15], -v[74:75]
	s_mov_b32 s0, 0x370991
	s_mov_b32 s27, 0xbfd71e95
	;; [unrolled: 1-line block ×3, first 2 shown]
	v_add_f64 v[130:131], v[12:13], v[72:73]
	v_add_f64 v[88:89], v[12:13], -v[72:73]
	s_mov_b32 s1, 0x3fedd6d0
	v_mul_f64 v[104:105], v[84:85], s[26:27]
	s_mov_b32 s18, 0x75d4884
	s_mov_b32 s31, 0xbfe58eea
	v_add_f64 v[86:87], v[18:19], -v[70:71]
	v_add_f64 v[132:133], v[14:15], v[74:75]
	v_mul_f64 v[106:107], v[88:89], s[26:27]
	v_fma_f64 v[0:1], s[0:1], v[130:131], v[104:105]
	s_mov_b32 s19, 0x3fe7a5f6
	s_mov_b32 s38, 0x7c9e640b
	v_add_f64 v[140:141], v[16:17], v[68:69]
	v_add_f64 v[90:91], v[16:17], -v[68:69]
	v_mul_f64 v[112:113], v[86:87], s[30:31]
	v_add_f64 v[0:1], v[8:9], v[0:1]
	v_fma_f64 v[2:3], v[132:133], s[0:1], -v[106:107]
	s_mov_b32 s8, 0x2b2883cd
	s_mov_b32 s39, 0xbfeca52d
	v_add_f64 v[142:143], v[18:19], v[70:71]
	v_mul_f64 v[114:115], v[90:91], s[30:31]
	v_fma_f64 v[4:5], s[18:19], v[140:141], v[112:113]
	v_add_f64 v[94:95], v[22:23], -v[66:67]
	v_add_f64 v[2:3], v[10:11], v[2:3]
	s_mov_b32 s9, 0x3fdc86fa
	s_mov_b32 s28, 0xeb564b22
	v_add_f64 v[0:1], v[4:5], v[0:1]
	v_fma_f64 v[4:5], v[142:143], s[18:19], -v[114:115]
	v_add_f64 v[148:149], v[20:21], v[64:65]
	v_add_f64 v[92:93], v[20:21], -v[64:65]
	v_mul_f64 v[116:117], v[94:95], s[38:39]
	s_mov_b32 s16, 0x3259b75e
	s_mov_b32 s29, 0xbfefdd0d
	v_add_f64 v[2:3], v[4:5], v[2:3]
	v_add_f64 v[150:151], v[22:23], v[66:67]
	v_mul_f64 v[134:135], v[92:93], s[38:39]
	v_fma_f64 v[4:5], s[8:9], v[148:149], v[116:117]
	v_add_f64 v[98:99], v[26:27], -v[62:63]
	s_mov_b32 s17, 0x3fb79ee6
	s_mov_b32 s34, 0x923c349f
	v_add_f64 v[0:1], v[4:5], v[0:1]
	v_fma_f64 v[4:5], v[150:151], s[8:9], -v[134:135]
	v_add_f64 v[156:157], v[24:25], v[60:61]
	v_add_f64 v[96:97], v[24:25], -v[60:61]
	v_mul_f64 v[138:139], v[98:99], s[28:29]
	s_mov_b32 s10, 0xc61f0d01
	s_mov_b32 s35, 0xbfeec746
	v_add_f64 v[2:3], v[4:5], v[2:3]
	v_add_f64 v[158:159], v[26:27], v[62:63]
	v_mul_f64 v[146:147], v[96:97], s[28:29]
	v_fma_f64 v[4:5], s[16:17], v[156:157], v[138:139]
	v_add_f64 v[102:103], v[30:31], -v[58:59]
	;; [unrolled: 14-line block ×3, first 2 shown]
	v_add_f64 v[254:255], v[34:35], -v[54:55]
	s_mov_b32 s21, 0xbfe348c8
	s_mov_b32 s44, 0x4363dd80
	v_add_f64 v[0:1], v[4:5], v[0:1]
	v_fma_f64 v[4:5], v[164:165], s[10:11], -v[250:251]
	v_add_f64 v[170:171], v[32:33], v[52:53]
	v_mul_f64 v[252:253], v[254:255], s[42:43]
	v_mul_f64 v[6:7], v[248:249], s[42:43]
	s_mov_b32 s45, 0x3fe0d888
	s_mov_b32 s47, 0xbfe0d888
	s_mov_b32 s46, s44
	v_add_f64 v[2:3], v[4:5], v[2:3]
	v_add_f64 v[172:173], v[34:35], v[54:55]
	v_fma_f64 v[4:5], s[20:21], v[170:171], v[252:253]
	v_accvgpr_write_b32 a15, v7
	v_add_f64 v[136:137], v[38:39], -v[50:51]
	s_mov_b32 s24, 0x910ea3b9
	v_add_f64 v[4:5], v[4:5], v[0:1]
	v_accvgpr_write_b32 a14, v6
	v_fma_f64 v[0:1], v[172:173], s[20:21], -v[6:7]
	v_mul_f64 v[6:7], v[136:137], s[46:47]
	s_mov_b32 s25, 0xbfeb34fa
	v_add_f64 v[2:3], v[0:1], v[2:3]
	v_add_f64 v[176:177], v[36:37], v[48:49]
	v_add_f64 v[0:1], v[36:37], -v[48:49]
	v_accvgpr_write_b32 a17, v7
	s_mov_b32 s40, 0xacd6c6b4
	v_add_f64 v[174:175], v[38:39], v[50:51]
	v_mul_f64 v[76:77], v[0:1], s[46:47]
	v_accvgpr_write_b32 a16, v6
	v_fma_f64 v[6:7], s[24:25], v[176:177], v[6:7]
	s_mov_b32 s41, 0xbfc7851a
	v_add_f64 v[4:5], v[6:7], v[4:5]
	v_fma_f64 v[6:7], v[174:175], s[24:25], -v[76:77]
	v_add_f64 v[160:161], v[42:43], -v[46:47]
	s_mov_b32 s22, 0x7faef3
	v_add_f64 v[2:3], v[6:7], v[2:3]
	v_mul_f64 v[6:7], v[160:161], s[40:41]
	s_mov_b32 s23, 0xbfef7484
	v_add_f64 v[190:191], v[40:41], v[44:45]
	v_accvgpr_write_b32 a21, v7
	v_accvgpr_write_b32 a20, v6
	v_fma_f64 v[6:7], s[22:23], v[190:191], v[6:7]
	v_add_f64 v[238:239], v[6:7], v[4:5]
	v_add_f64 v[6:7], v[40:41], -v[44:45]
	v_mul_f64 v[4:5], v[6:7], s[40:41]
	v_add_f64 v[196:197], v[42:43], v[46:47]
	v_accvgpr_write_b32 a23, v5
	v_accvgpr_write_b32 a22, v4
	v_fma_f64 v[4:5], v[196:197], s[22:23], -v[4:5]
	v_add_f64 v[240:241], v[4:5], v[2:3]
	v_mul_f64 v[2:3], v[84:85], s[30:31]
	v_accvgpr_write_b32 a25, v3
	v_mul_f64 v[4:5], v[86:87], s[28:29]
	v_accvgpr_write_b32 a24, v2
	v_fma_f64 v[2:3], s[18:19], v[130:131], v[2:3]
	v_accvgpr_write_b32 a27, v5
	v_add_f64 v[2:3], v[8:9], v[2:3]
	v_accvgpr_write_b32 a26, v4
	v_fma_f64 v[4:5], s[16:17], v[140:141], v[4:5]
	v_accvgpr_write_b32 a18, v76
	v_add_f64 v[2:3], v[4:5], v[2:3]
	v_mul_f64 v[4:5], v[88:89], s[30:31]
	v_accvgpr_write_b32 a19, v77
	v_accvgpr_write_b32 a33, v5
	v_mul_f64 v[76:77], v[90:91], s[28:29]
	v_accvgpr_write_b32 a32, v4
	v_fma_f64 v[4:5], v[132:133], s[18:19], -v[4:5]
	v_accvgpr_write_b32 a34, v76
	v_add_f64 v[4:5], v[10:11], v[4:5]
	v_accvgpr_write_b32 a35, v77
	v_fma_f64 v[76:77], v[142:143], s[16:17], -v[76:77]
	v_add_f64 v[4:5], v[76:77], v[4:5]
	v_mul_f64 v[76:77], v[94:95], s[42:43]
	v_accvgpr_write_b32 a28, v76
	v_accvgpr_write_b32 a29, v77
	v_fma_f64 v[76:77], s[20:21], v[148:149], v[76:77]
	v_add_f64 v[2:3], v[76:77], v[2:3]
	v_mul_f64 v[76:77], v[92:93], s[42:43]
	v_accvgpr_write_b32 a38, v76
	v_accvgpr_write_b32 a39, v77
	v_fma_f64 v[76:77], v[150:151], s[20:21], -v[76:77]
	v_add_f64 v[4:5], v[76:77], v[4:5]
	v_mul_f64 v[76:77], v[98:99], s[40:41]
	v_accvgpr_write_b32 a30, v76
	v_accvgpr_write_b32 a31, v77
	v_fma_f64 v[76:77], s[22:23], v[156:157], v[76:77]
	v_add_f64 v[2:3], v[76:77], v[2:3]
	v_mul_f64 v[76:77], v[96:97], s[40:41]
	v_accvgpr_write_b32 a42, v76
	;; [unrolled: 10-line block ×3, first 2 shown]
	v_accvgpr_write_b32 a47, v77
	v_fma_f64 v[76:77], v[164:165], s[24:25], -v[76:77]
	s_mov_b32 s51, 0x3feec746
	s_mov_b32 s50, s34
	v_add_f64 v[4:5], v[76:77], v[4:5]
	v_mul_f64 v[76:77], v[254:255], s[50:51]
	v_accvgpr_write_b32 a40, v76
	v_accvgpr_write_b32 a41, v77
	v_fma_f64 v[76:77], s[10:11], v[170:171], v[76:77]
	v_add_f64 v[2:3], v[76:77], v[2:3]
	v_mul_f64 v[76:77], v[248:249], s[50:51]
	v_accvgpr_write_b32 a50, v76
	v_accvgpr_write_b32 a51, v77
	v_fma_f64 v[76:77], v[172:173], s[10:11], -v[76:77]
	s_mov_b32 s49, 0x3feca52d
	s_mov_b32 s48, s38
	v_add_f64 v[4:5], v[76:77], v[4:5]
	v_mul_f64 v[76:77], v[136:137], s[48:49]
	v_accvgpr_write_b32 a44, v76
	v_accvgpr_write_b32 a45, v77
	v_fma_f64 v[76:77], s[8:9], v[176:177], v[76:77]
	v_add_f64 v[2:3], v[76:77], v[2:3]
	v_mul_f64 v[76:77], v[0:1], s[48:49]
	v_accvgpr_write_b32 a52, v76
	;; [unrolled: 12-line block ×3, first 2 shown]
	v_accvgpr_write_b32 a54, v2
	v_fma_f64 v[2:3], v[196:197], s[0:1], -v[2:3]
	v_add_f64 v[244:245], v[2:3], v[4:5]
	v_mul_f64 v[2:3], v[84:85], s[38:39]
	v_accvgpr_write_b32 a57, v3
	v_mul_f64 v[4:5], v[86:87], s[42:43]
	v_accvgpr_write_b32 a56, v2
	v_fma_f64 v[2:3], s[8:9], v[130:131], v[2:3]
	v_accvgpr_write_b32 a59, v5
	v_add_f64 v[2:3], v[8:9], v[2:3]
	v_accvgpr_write_b32 a58, v4
	v_fma_f64 v[4:5], s[20:21], v[140:141], v[4:5]
	v_add_f64 v[2:3], v[4:5], v[2:3]
	v_mul_f64 v[4:5], v[88:89], s[38:39]
	v_accvgpr_write_b32 a69, v5
	v_mul_f64 v[76:77], v[90:91], s[42:43]
	v_accvgpr_write_b32 a68, v4
	v_fma_f64 v[4:5], v[132:133], s[8:9], -v[4:5]
	v_accvgpr_write_b32 a72, v76
	v_add_f64 v[4:5], v[10:11], v[4:5]
	v_accvgpr_write_b32 a73, v77
	v_fma_f64 v[76:77], v[142:143], s[20:21], -v[76:77]
	s_mov_b32 s57, 0x3fc7851a
	s_mov_b32 s56, s40
	v_add_f64 v[4:5], v[76:77], v[4:5]
	v_mul_f64 v[76:77], v[94:95], s[56:57]
	v_accvgpr_write_b32 a60, v76
	v_accvgpr_write_b32 a61, v77
	v_fma_f64 v[76:77], s[22:23], v[148:149], v[76:77]
	v_add_f64 v[2:3], v[76:77], v[2:3]
	v_mul_f64 v[76:77], v[92:93], s[56:57]
	v_accvgpr_write_b32 a76, v76
	v_accvgpr_write_b32 a77, v77
	v_fma_f64 v[76:77], v[150:151], s[22:23], -v[76:77]
	v_add_f64 v[4:5], v[76:77], v[4:5]
	v_mul_f64 v[76:77], v[98:99], s[50:51]
	v_accvgpr_write_b32 a62, v76
	v_accvgpr_write_b32 a63, v77
	v_fma_f64 v[76:77], s[10:11], v[156:157], v[76:77]
	v_add_f64 v[2:3], v[76:77], v[2:3]
	v_mul_f64 v[76:77], v[96:97], s[50:51]
	v_accvgpr_write_b32 a79, v77
	v_accvgpr_write_b32 a78, v76
	v_fma_f64 v[76:77], v[158:159], s[10:11], -v[76:77]
	s_mov_b32 s53, 0x3fe58eea
	s_mov_b32 s52, s30
	v_add_f64 v[4:5], v[76:77], v[4:5]
	v_mul_f64 v[76:77], v[102:103], s[52:53]
	v_accvgpr_write_b32 a64, v76
	v_accvgpr_write_b32 a65, v77
	v_fma_f64 v[76:77], s[18:19], v[162:163], v[76:77]
	v_add_f64 v[2:3], v[76:77], v[2:3]
	v_mul_f64 v[76:77], v[100:101], s[52:53]
	v_accvgpr_write_b32 a81, v77
	v_accvgpr_write_b32 a80, v76
	v_fma_f64 v[76:77], v[164:165], s[18:19], -v[76:77]
	v_add_f64 v[4:5], v[76:77], v[4:5]
	v_mul_f64 v[76:77], v[254:255], s[26:27]
	v_accvgpr_write_b32 a66, v76
	v_accvgpr_write_b32 a67, v77
	v_fma_f64 v[76:77], s[0:1], v[170:171], v[76:77]
	v_add_f64 v[2:3], v[76:77], v[2:3]
	v_mul_f64 v[76:77], v[248:249], s[26:27]
	v_accvgpr_write_b32 a83, v77
	v_accvgpr_write_b32 a82, v76
	v_fma_f64 v[76:77], v[172:173], s[0:1], -v[76:77]
	;; [unrolled: 10-line block ×4, first 2 shown]
	v_add_f64 v[110:111], v[2:3], v[4:5]
	v_mul_f64 v[2:3], v[84:85], s[28:29]
	v_accvgpr_write_b32 a89, v3
	v_mul_f64 v[4:5], v[86:87], s[40:41]
	v_accvgpr_write_b32 a88, v2
	v_fma_f64 v[2:3], s[16:17], v[130:131], v[2:3]
	v_accvgpr_write_b32 a91, v5
	v_add_f64 v[2:3], v[8:9], v[2:3]
	v_accvgpr_write_b32 a90, v4
	v_fma_f64 v[4:5], s[22:23], v[140:141], v[4:5]
	v_add_f64 v[4:5], v[4:5], v[2:3]
	v_mul_f64 v[154:155], v[88:89], s[28:29]
	v_mul_f64 v[2:3], v[90:91], s[40:41]
	v_fma_f64 v[76:77], v[132:133], s[16:17], -v[154:155]
	v_accvgpr_write_b32 a99, v3
	v_add_f64 v[76:77], v[10:11], v[76:77]
	v_accvgpr_write_b32 a98, v2
	v_fma_f64 v[78:79], v[142:143], s[22:23], -v[2:3]
	v_mul_f64 v[2:3], v[94:95], s[50:51]
	v_add_f64 v[76:77], v[78:79], v[76:77]
	v_fma_f64 v[78:79], s[10:11], v[148:149], v[2:3]
	v_add_f64 v[4:5], v[78:79], v[4:5]
	v_mul_f64 v[78:79], v[92:93], s[50:51]
	v_accvgpr_write_b32 a103, v79
	v_accvgpr_write_b32 a102, v78
	v_fma_f64 v[78:79], v[150:151], s[10:11], -v[78:79]
	v_mul_f64 v[152:153], v[98:99], s[54:55]
	v_add_f64 v[76:77], v[78:79], v[76:77]
	v_fma_f64 v[78:79], s[0:1], v[156:157], v[152:153]
	v_add_f64 v[4:5], v[78:79], v[4:5]
	v_mul_f64 v[78:79], v[96:97], s[54:55]
	v_accvgpr_write_b32 a107, v79
	v_accvgpr_write_b32 a106, v78
	v_fma_f64 v[78:79], v[158:159], s[0:1], -v[78:79]
	v_add_f64 v[76:77], v[78:79], v[76:77]
	v_mul_f64 v[78:79], v[102:103], s[38:39]
	v_accvgpr_write_b32 a97, v79
	v_accvgpr_write_b32 a96, v78
	v_fma_f64 v[78:79], s[8:9], v[162:163], v[78:79]
	v_add_f64 v[4:5], v[78:79], v[4:5]
	v_mul_f64 v[78:79], v[100:101], s[38:39]
	v_accvgpr_write_b32 a111, v79
	v_accvgpr_write_b32 a110, v78
	v_fma_f64 v[78:79], v[164:165], s[8:9], -v[78:79]
	v_add_f64 v[76:77], v[78:79], v[76:77]
	v_mul_f64 v[78:79], v[254:255], s[46:47]
	v_accvgpr_write_b32 a101, v79
	v_accvgpr_write_b32 a100, v78
	v_fma_f64 v[78:79], s[24:25], v[170:171], v[78:79]
	v_add_f64 v[4:5], v[78:79], v[4:5]
	v_mul_f64 v[78:79], v[248:249], s[46:47]
	v_accvgpr_write_b32 a117, v79
	v_accvgpr_write_b32 a116, v78
	v_fma_f64 v[78:79], v[172:173], s[24:25], -v[78:79]
	s_mov_b32 s59, 0x3fe9895b
	s_mov_b32 s58, s42
	v_add_f64 v[76:77], v[78:79], v[76:77]
	v_mul_f64 v[78:79], v[136:137], s[58:59]
	v_accvgpr_write_b32 a105, v79
	v_accvgpr_write_b32 a104, v78
	v_fma_f64 v[78:79], s[20:21], v[176:177], v[78:79]
	v_add_f64 v[78:79], v[78:79], v[4:5]
	v_mul_f64 v[4:5], v[0:1], s[58:59]
	v_fma_f64 v[80:81], v[174:175], s[20:21], -v[4:5]
	v_add_f64 v[76:77], v[80:81], v[76:77]
	v_mul_f64 v[80:81], v[160:161], s[52:53]
	v_accvgpr_write_b32 a109, v81
	v_accvgpr_write_b32 a108, v80
	v_fma_f64 v[80:81], s[18:19], v[190:191], v[80:81]
	v_mul_f64 v[166:167], v[6:7], s[52:53]
	v_add_f64 v[118:119], v[80:81], v[78:79]
	v_fma_f64 v[78:79], v[196:197], s[18:19], -v[166:167]
	v_mul_f64 v[168:169], v[84:85], s[34:35]
	v_add_f64 v[120:121], v[78:79], v[76:77]
	v_fma_f64 v[76:77], s[10:11], v[130:131], v[168:169]
	v_mul_f64 v[178:179], v[86:87], s[44:45]
	v_add_f64 v[76:77], v[8:9], v[76:77]
	v_fma_f64 v[78:79], s[24:25], v[140:141], v[178:179]
	v_mul_f64 v[184:185], v[88:89], s[34:35]
	v_add_f64 v[76:77], v[78:79], v[76:77]
	v_fma_f64 v[78:79], v[132:133], s[10:11], -v[184:185]
	v_mul_f64 v[188:189], v[90:91], s[44:45]
	v_add_f64 v[78:79], v[10:11], v[78:79]
	v_fma_f64 v[80:81], v[142:143], s[24:25], -v[188:189]
	v_mul_f64 v[180:181], v[94:95], s[52:53]
	v_add_f64 v[78:79], v[80:81], v[78:79]
	v_fma_f64 v[80:81], s[18:19], v[148:149], v[180:181]
	v_mul_f64 v[194:195], v[92:93], s[52:53]
	v_add_f64 v[76:77], v[80:81], v[76:77]
	v_fma_f64 v[80:81], v[150:151], s[18:19], -v[194:195]
	v_mul_f64 v[182:183], v[98:99], s[38:39]
	v_add_f64 v[78:79], v[80:81], v[78:79]
	v_fma_f64 v[80:81], s[8:9], v[156:157], v[182:183]
	;; [unrolled: 6-line block ×3, first 2 shown]
	v_mul_f64 v[204:205], v[100:101], s[40:41]
	s_mov_b32 s61, 0x3fefdd0d
	s_mov_b32 s60, s28
	v_add_f64 v[76:77], v[80:81], v[76:77]
	v_fma_f64 v[80:81], v[164:165], s[22:23], -v[204:205]
	v_mul_f64 v[192:193], v[254:255], s[60:61]
	v_add_f64 v[78:79], v[80:81], v[78:79]
	v_fma_f64 v[80:81], s[16:17], v[170:171], v[192:193]
	v_mul_f64 v[206:207], v[248:249], s[60:61]
	v_add_f64 v[76:77], v[80:81], v[76:77]
	v_fma_f64 v[80:81], v[172:173], s[16:17], -v[206:207]
	v_mul_f64 v[198:199], v[136:137], s[26:27]
	v_add_f64 v[78:79], v[80:81], v[78:79]
	v_fma_f64 v[80:81], s[0:1], v[176:177], v[198:199]
	v_mul_f64 v[214:215], v[0:1], s[26:27]
	;; [unrolled: 6-line block ×4, first 2 shown]
	v_add_f64 v[76:77], v[8:9], v[76:77]
	v_fma_f64 v[78:79], s[10:11], v[140:141], v[210:211]
	v_mul_f64 v[208:209], v[88:89], s[42:43]
	v_add_f64 v[78:79], v[78:79], v[76:77]
	v_fma_f64 v[76:77], v[132:133], s[20:21], -v[208:209]
	v_mul_f64 v[220:221], v[90:91], s[50:51]
	v_add_f64 v[76:77], v[10:11], v[76:77]
	v_fma_f64 v[80:81], v[142:143], s[10:11], -v[220:221]
	v_add_f64 v[80:81], v[80:81], v[76:77]
	v_mul_f64 v[76:77], v[94:95], s[26:27]
	v_fma_f64 v[82:83], s[0:1], v[148:149], v[76:77]
	v_mul_f64 v[224:225], v[92:93], s[26:27]
	v_add_f64 v[82:83], v[82:83], v[78:79]
	v_fma_f64 v[78:79], v[150:151], s[0:1], -v[224:225]
	v_add_f64 v[80:81], v[78:79], v[80:81]
	v_mul_f64 v[78:79], v[98:99], s[46:47]
	v_fma_f64 v[126:127], s[24:25], v[156:157], v[78:79]
	v_add_f64 v[126:127], v[126:127], v[82:83]
	v_mul_f64 v[82:83], v[96:97], s[46:47]
	v_fma_f64 v[128:129], v[158:159], s[24:25], -v[82:83]
	v_mul_f64 v[212:213], v[102:103], s[60:61]
	v_add_f64 v[80:81], v[128:129], v[80:81]
	v_fma_f64 v[128:129], s[16:17], v[162:163], v[212:213]
	v_mul_f64 v[228:229], v[100:101], s[60:61]
	v_add_f64 v[126:127], v[128:129], v[126:127]
	v_fma_f64 v[128:129], v[164:165], s[16:17], -v[228:229]
	v_mul_f64 v[222:223], v[254:255], s[30:31]
	v_add_f64 v[80:81], v[128:129], v[80:81]
	v_fma_f64 v[128:129], s[18:19], v[170:171], v[222:223]
	v_mul_f64 v[230:231], v[248:249], s[30:31]
	v_add_f64 v[126:127], v[128:129], v[126:127]
	v_fma_f64 v[128:129], v[172:173], s[18:19], -v[230:231]
	v_add_f64 v[128:129], v[128:129], v[80:81]
	v_mul_f64 v[80:81], v[136:137], s[40:41]
	v_fma_f64 v[226:227], s[22:23], v[176:177], v[80:81]
	v_mul_f64 v[232:233], v[0:1], s[40:41]
	v_add_f64 v[126:127], v[226:227], v[126:127]
	v_fma_f64 v[226:227], v[174:175], s[22:23], -v[232:233]
	v_add_f64 v[128:129], v[226:227], v[128:129]
	v_mul_f64 v[226:227], v[160:161], s[48:49]
	v_fma_f64 v[234:235], s[8:9], v[190:191], v[226:227]
	v_add_f64 v[126:127], v[234:235], v[126:127]
	v_mul_f64 v[234:235], v[6:7], s[48:49]
	v_fma_f64 v[236:237], v[196:197], s[8:9], -v[234:235]
	v_add_f64 v[128:129], v[236:237], v[128:129]
	s_barrier
	s_mov_b64 s[36:37], exec
	v_accvgpr_write_b32 a2, v144
	s_and_b64 s[62:63], s[36:37], s[4:5]
	v_accvgpr_write_b32 a3, v145
	s_mov_b64 exec, s[62:63]
	s_cbranch_execz .LBB0_7
; %bb.6:
	v_mul_f64 v[236:237], v[132:133], s[22:23]
	v_accvgpr_write_b32 a6, v238
	v_accvgpr_write_b32 a7, v239
	;; [unrolled: 1-line block ×4, first 2 shown]
	v_fma_f64 v[238:239], s[56:57], v[88:89], v[236:237]
	v_mul_f64 v[240:241], v[142:143], s[0:1]
	v_accvgpr_write_b32 a10, v242
	v_add_f64 v[238:239], v[10:11], v[238:239]
	v_accvgpr_write_b32 a11, v243
	v_accvgpr_write_b32 a12, v244
	;; [unrolled: 1-line block ×3, first 2 shown]
	v_fma_f64 v[242:243], s[26:27], v[90:91], v[240:241]
	v_add_f64 v[238:239], v[242:243], v[238:239]
	v_mul_f64 v[242:243], v[150:151], s[24:25]
	v_fma_f64 v[244:245], s[44:45], v[92:93], v[242:243]
	v_add_f64 v[238:239], v[244:245], v[238:239]
	v_mul_f64 v[244:245], v[158:159], s[18:19]
	v_accvgpr_write_b32 a112, v246
	v_accvgpr_write_b32 a113, v247
	v_fma_f64 v[246:247], s[30:31], v[96:97], v[244:245]
	v_add_f64 v[238:239], v[246:247], v[238:239]
	v_mul_f64 v[246:247], v[164:165], s[20:21]
	v_accvgpr_write_b32 a120, v250
	v_accvgpr_write_b32 a121, v251
	;; [unrolled: 5-line block ×5, first 2 shown]
	v_accvgpr_write_b32 a126, v106
	v_fma_f64 v[106:107], s[22:23], v[130:131], v[238:239]
	v_accvgpr_write_b32 a136, v2
	v_mul_f64 v[2:3], v[86:87], s[54:55]
	v_accvgpr_write_b32 a123, v113
	v_add_f64 v[106:107], v[8:9], v[106:107]
	v_accvgpr_write_b32 a122, v112
	v_fma_f64 v[112:113], s[0:1], v[140:141], v[2:3]
	v_add_f64 v[106:107], v[112:113], v[106:107]
	v_mul_f64 v[112:113], v[94:95], s[46:47]
	v_accvgpr_write_b32 a131, v115
	v_accvgpr_write_b32 a130, v114
	v_fma_f64 v[114:115], s[24:25], v[148:149], v[112:113]
	v_add_f64 v[106:107], v[114:115], v[106:107]
	v_mul_f64 v[114:115], v[98:99], s[52:53]
	v_accvgpr_write_b32 a125, v117
	;; [unrolled: 5-line block ×4, first 2 shown]
	v_accvgpr_write_b32 a129, v139
	v_fma_f64 v[138:139], s[8:9], v[170:171], v[134:135]
	v_add_f64 v[106:107], v[138:139], v[106:107]
	v_mul_f64 v[138:139], v[136:137], s[34:35]
	v_fma_f64 v[144:145], s[10:11], v[176:177], v[138:139]
	v_add_f64 v[106:107], v[144:145], v[106:107]
	v_mul_f64 v[144:145], v[196:197], s[16:17]
	v_accvgpr_write_b32 a134, v146
	v_accvgpr_write_b32 a135, v147
	v_fma_f64 v[146:147], s[28:29], v[6:7], v[144:145]
	v_accvgpr_write_b32 a140, v154
	v_accvgpr_write_b32 a141, v155
	v_add_f64 v[154:155], v[146:147], v[104:105]
	v_mul_f64 v[104:105], v[160:161], s[60:61]
	v_fma_f64 v[146:147], s[16:17], v[190:191], v[104:105]
	v_accvgpr_write_b32 a138, v152
	v_accvgpr_write_b32 a139, v153
	v_add_f64 v[152:153], v[146:147], v[106:107]
	v_fma_f64 v[146:147], v[130:131], s[22:23], -v[238:239]
	v_fmac_f64_e32 v[236:237], s[40:41], v[88:89]
	v_fma_f64 v[2:3], v[140:141], s[0:1], -v[2:3]
	v_add_f64 v[146:147], v[8:9], v[146:147]
	v_fmac_f64_e32 v[240:241], s[54:55], v[90:91]
	v_add_f64 v[106:107], v[10:11], v[236:237]
	v_add_f64 v[2:3], v[2:3], v[146:147]
	v_fma_f64 v[112:113], v[148:149], s[24:25], -v[112:113]
	v_add_f64 v[106:107], v[240:241], v[106:107]
	v_fmac_f64_e32 v[242:243], s[46:47], v[92:93]
	v_add_f64 v[2:3], v[112:113], v[2:3]
	v_fma_f64 v[112:113], v[156:157], s[18:19], -v[114:115]
	v_add_f64 v[106:107], v[242:243], v[106:107]
	v_fmac_f64_e32 v[244:245], s[52:53], v[96:97]
	;; [unrolled: 4-line block ×6, first 2 shown]
	v_add_f64 v[250:251], v[104:105], v[2:3]
	v_mul_f64 v[2:3], v[132:133], s[24:25]
	v_add_f64 v[252:253], v[144:145], v[106:107]
	v_fma_f64 v[104:105], s[44:45], v[88:89], v[2:3]
	v_mul_f64 v[106:107], v[142:143], s[8:9]
	v_add_f64 v[104:105], v[10:11], v[104:105]
	v_fma_f64 v[112:113], s[38:39], v[90:91], v[106:107]
	v_add_f64 v[104:105], v[112:113], v[104:105]
	v_mul_f64 v[112:113], v[150:151], s[16:17]
	v_fma_f64 v[114:115], s[60:61], v[92:93], v[112:113]
	v_add_f64 v[104:105], v[114:115], v[104:105]
	v_mul_f64 v[114:115], v[158:159], s[20:21]
	;; [unrolled: 3-line block ×5, first 2 shown]
	v_fma_f64 v[144:145], s[30:31], v[0:1], v[138:139]
	v_mul_f64 v[146:147], v[84:85], s[46:47]
	v_add_f64 v[104:105], v[144:145], v[104:105]
	v_mul_f64 v[144:145], v[86:87], s[48:49]
	v_fma_f64 v[84:85], s[24:25], v[130:131], v[146:147]
	v_add_f64 v[84:85], v[8:9], v[84:85]
	v_fma_f64 v[86:87], s[8:9], v[140:141], v[144:145]
	v_mul_f64 v[94:95], v[94:95], s[28:29]
	v_add_f64 v[84:85], v[86:87], v[84:85]
	v_fma_f64 v[86:87], s[16:17], v[148:149], v[94:95]
	v_mul_f64 v[98:99], v[98:99], s[58:59]
	v_add_f64 v[84:85], v[86:87], v[84:85]
	v_fma_f64 v[86:87], s[20:21], v[156:157], v[98:99]
	v_mul_f64 v[102:103], v[102:103], s[26:27]
	v_add_f64 v[84:85], v[86:87], v[84:85]
	v_fma_f64 v[86:87], s[0:1], v[162:163], v[102:103]
	v_mul_f64 v[236:237], v[254:255], s[40:41]
	v_add_f64 v[84:85], v[86:87], v[84:85]
	v_fma_f64 v[86:87], s[22:23], v[170:171], v[236:237]
	v_mul_f64 v[136:137], v[136:137], s[52:53]
	v_add_f64 v[84:85], v[86:87], v[84:85]
	v_fma_f64 v[86:87], s[18:19], v[176:177], v[136:137]
	v_mul_f64 v[238:239], v[196:197], s[10:11]
	v_add_f64 v[84:85], v[86:87], v[84:85]
	v_fma_f64 v[86:87], s[50:51], v[6:7], v[238:239]
	v_fmac_f64_e32 v[238:239], s[34:35], v[6:7]
	v_fmac_f64_e32 v[2:3], s[46:47], v[88:89]
	v_fma_f64 v[6:7], v[130:131], s[24:25], -v[146:147]
	v_fmac_f64_e32 v[138:139], s[52:53], v[0:1]
	v_add_f64 v[0:1], v[10:11], v[2:3]
	v_fma_f64 v[2:3], v[140:141], s[8:9], -v[144:145]
	v_add_f64 v[6:7], v[8:9], v[6:7]
	v_add_f64 v[2:3], v[2:3], v[6:7]
	v_fma_f64 v[6:7], v[148:149], s[16:17], -v[94:95]
	v_add_f64 v[2:3], v[6:7], v[2:3]
	v_fma_f64 v[6:7], v[156:157], s[20:21], -v[98:99]
	v_mul_f64 v[98:99], v[132:133], s[20:21]
	v_fmac_f64_e32 v[114:115], s[58:59], v[96:97]
	v_mul_f64 v[94:95], v[158:159], s[24:25]
	v_mul_f64 v[96:97], v[142:143], s[10:11]
	v_add_f64 v[98:99], v[208:209], v[98:99]
	v_add_f64 v[82:83], v[82:83], v[94:95]
	v_mul_f64 v[94:95], v[150:151], s[0:1]
	v_add_f64 v[96:97], v[220:221], v[96:97]
	v_add_f64 v[98:99], v[10:11], v[98:99]
	;; [unrolled: 1-line block ×4, first 2 shown]
	v_fmac_f64_e32 v[106:107], s[48:49], v[90:91]
	v_add_f64 v[94:95], v[94:95], v[96:97]
	v_fmac_f64_e32 v[112:113], s[28:29], v[92:93]
	v_add_f64 v[0:1], v[106:107], v[0:1]
	v_add_f64 v[2:3], v[6:7], v[2:3]
	v_fma_f64 v[6:7], v[162:163], s[0:1], -v[102:103]
	v_add_f64 v[82:83], v[82:83], v[94:95]
	v_mul_f64 v[94:95], v[156:157], s[24:25]
	v_add_f64 v[0:1], v[112:113], v[0:1]
	v_add_f64 v[2:3], v[6:7], v[2:3]
	v_fma_f64 v[6:7], v[170:171], s[22:23], -v[236:237]
	v_add_f64 v[78:79], v[94:95], -v[78:79]
	v_mul_f64 v[94:95], v[148:149], s[0:1]
	v_mul_f64 v[96:97], v[130:131], s[20:21]
	v_fmac_f64_e32 v[116:117], s[26:27], v[100:101]
	v_add_f64 v[0:1], v[114:115], v[0:1]
	v_add_f64 v[2:3], v[6:7], v[2:3]
	v_fma_f64 v[6:7], v[176:177], s[18:19], -v[136:137]
	v_mul_f64 v[92:93], v[164:165], s[16:17]
	v_add_f64 v[76:77], v[94:95], -v[76:77]
	v_mul_f64 v[94:95], v[140:141], s[10:11]
	v_add_f64 v[96:97], v[96:97], -v[218:219]
	v_fmac_f64_e32 v[134:135], s[40:41], v[248:249]
	v_add_f64 v[0:1], v[116:117], v[0:1]
	v_add_f64 v[2:3], v[6:7], v[2:3]
	v_mul_f64 v[6:7], v[172:173], s[18:19]
	v_add_f64 v[92:93], v[228:229], v[92:93]
	v_add_f64 v[94:95], v[94:95], -v[210:211]
	v_add_f64 v[96:97], v[8:9], v[96:97]
	v_add_f64 v[0:1], v[134:135], v[0:1]
	;; [unrolled: 1-line block ×6, first 2 shown]
	v_mul_f64 v[104:105], v[160:161], s[34:35]
	v_add_f64 v[0:1], v[138:139], v[0:1]
	v_add_f64 v[6:7], v[6:7], v[82:83]
	v_mul_f64 v[82:83], v[176:177], s[22:23]
	v_mul_f64 v[92:93], v[162:163], s[16:17]
	v_add_f64 v[76:77], v[76:77], v[94:95]
	v_add_f64 v[90:91], v[238:239], v[0:1]
	v_fma_f64 v[0:1], v[190:191], s[10:11], -v[104:105]
	v_add_f64 v[80:81], v[82:83], -v[80:81]
	v_mul_f64 v[82:83], v[170:171], s[18:19]
	v_add_f64 v[92:93], v[92:93], -v[212:213]
	v_add_f64 v[76:77], v[78:79], v[76:77]
	v_add_f64 v[88:89], v[0:1], v[2:3]
	v_mul_f64 v[2:3], v[174:175], s[22:23]
	v_add_f64 v[82:83], v[82:83], -v[222:223]
	v_add_f64 v[76:77], v[92:93], v[76:77]
	v_mul_f64 v[96:97], v[132:133], s[10:11]
	v_add_f64 v[2:3], v[232:233], v[2:3]
	v_add_f64 v[76:77], v[82:83], v[76:77]
	v_mul_f64 v[82:83], v[142:143], s[24:25]
	v_add_f64 v[96:97], v[184:185], v[96:97]
	v_mul_f64 v[100:101], v[130:131], s[10:11]
	;; [unrolled: 2-line block ×4, first 2 shown]
	v_add_f64 v[82:83], v[188:189], v[82:83]
	v_add_f64 v[96:97], v[10:11], v[96:97]
	v_mul_f64 v[98:99], v[140:141], s[24:25]
	v_add_f64 v[100:101], v[100:101], -v[168:169]
	v_add_f64 v[6:7], v[6:7], -v[226:227]
	v_mul_f64 v[78:79], v[158:159], s[8:9]
	v_add_f64 v[80:81], v[194:195], v[80:81]
	v_add_f64 v[82:83], v[82:83], v[96:97]
	v_mul_f64 v[96:97], v[148:149], s[18:19]
	v_add_f64 v[98:99], v[98:99], -v[178:179]
	v_add_f64 v[100:101], v[8:9], v[100:101]
	v_mul_f64 v[0:1], v[196:197], s[8:9]
	v_add_f64 v[92:93], v[6:7], v[76:77]
	v_mul_f64 v[76:77], v[164:165], s[22:23]
	v_add_f64 v[78:79], v[200:201], v[78:79]
	v_add_f64 v[80:81], v[80:81], v[82:83]
	v_mul_f64 v[82:83], v[156:157], s[8:9]
	v_add_f64 v[96:97], v[96:97], -v[180:181]
	v_add_f64 v[98:99], v[98:99], v[100:101]
	v_add_f64 v[0:1], v[234:235], v[0:1]
	v_mul_f64 v[6:7], v[172:173], s[16:17]
	v_add_f64 v[76:77], v[204:205], v[76:77]
	v_add_f64 v[78:79], v[78:79], v[80:81]
	v_mul_f64 v[80:81], v[162:163], s[22:23]
	v_add_f64 v[82:83], v[82:83], -v[182:183]
	v_add_f64 v[96:97], v[96:97], v[98:99]
	;; [unrolled: 7-line block ×3, first 2 shown]
	v_add_f64 v[2:3], v[214:215], v[2:3]
	v_add_f64 v[6:7], v[6:7], v[76:77]
	v_mul_f64 v[76:77], v[176:177], s[0:1]
	v_add_f64 v[78:79], v[78:79], -v[192:193]
	v_add_f64 v[80:81], v[80:81], v[82:83]
	v_mul_f64 v[0:1], v[196:197], s[20:21]
	v_add_f64 v[2:3], v[2:3], v[6:7]
	v_mul_f64 v[6:7], v[190:191], s[20:21]
	v_add_f64 v[76:77], v[76:77], -v[198:199]
	v_add_f64 v[78:79], v[78:79], v[80:81]
	v_add_f64 v[0:1], v[216:217], v[0:1]
	v_add_f64 v[6:7], v[6:7], -v[202:203]
	v_add_f64 v[76:77], v[76:77], v[78:79]
	v_add_f64 v[98:99], v[0:1], v[2:3]
	;; [unrolled: 1-line block ×3, first 2 shown]
	v_mul_f64 v[2:3], v[174:175], s[20:21]
	v_accvgpr_read_b32 v6, a116
	v_add_f64 v[2:3], v[4:5], v[2:3]
	v_mul_f64 v[4:5], v[172:173], s[24:25]
	v_accvgpr_read_b32 v7, a117
	v_accvgpr_read_b32 v76, a110
	v_add_f64 v[4:5], v[6:7], v[4:5]
	v_mul_f64 v[6:7], v[164:165], s[8:9]
	v_accvgpr_read_b32 v77, a111
	;; [unrolled: 4-line block ×6, first 2 shown]
	v_add_f64 v[82:83], v[100:101], v[82:83]
	v_add_f64 v[82:83], v[10:11], v[82:83]
	;; [unrolled: 1-line block ×7, first 2 shown]
	v_accvgpr_read_b32 v6, a108
	v_add_f64 v[2:3], v[2:3], v[4:5]
	v_mul_f64 v[4:5], v[190:191], s[18:19]
	v_accvgpr_read_b32 v7, a109
	v_accvgpr_read_b32 v76, a104
	v_add_f64 v[4:5], v[4:5], -v[6:7]
	v_mul_f64 v[6:7], v[176:177], s[20:21]
	v_accvgpr_read_b32 v77, a105
	v_accvgpr_read_b32 v78, a100
	v_add_f64 v[6:7], v[6:7], -v[76:77]
	;; [unrolled: 4-line block ×5, first 2 shown]
	v_mul_f64 v[82:83], v[148:149], s[10:11]
	v_accvgpr_read_b32 v101, a137
	v_accvgpr_read_b32 v103, a91
	v_fma_f64 v[160:161], s[10:11], v[190:191], v[104:105]
	v_add_f64 v[82:83], v[82:83], -v[100:101]
	v_mul_f64 v[100:101], v[140:141], s[22:23]
	v_accvgpr_read_b32 v102, a90
	v_accvgpr_read_b32 v105, a89
	v_add_f64 v[100:101], v[100:101], -v[102:103]
	v_mul_f64 v[102:103], v[130:131], s[16:17]
	v_accvgpr_read_b32 v104, a88
	v_add_f64 v[102:103], v[102:103], -v[104:105]
	v_add_f64 v[102:103], v[8:9], v[102:103]
	v_add_f64 v[100:101], v[100:101], v[102:103]
	;; [unrolled: 1-line block ×4, first 2 shown]
	v_mul_f64 v[0:1], v[196:197], s[18:19]
	v_add_f64 v[78:79], v[78:79], v[80:81]
	v_add_f64 v[0:1], v[166:167], v[0:1]
	;; [unrolled: 1-line block ×5, first 2 shown]
	v_accvgpr_read_b32 v2, a86
	v_add_f64 v[100:101], v[4:5], v[6:7]
	v_mul_f64 v[0:1], v[196:197], s[24:25]
	v_accvgpr_read_b32 v3, a87
	v_accvgpr_read_b32 v4, a84
	v_add_f64 v[0:1], v[2:3], v[0:1]
	v_mul_f64 v[2:3], v[174:175], s[16:17]
	v_accvgpr_read_b32 v5, a85
	;; [unrolled: 4-line block ×8, first 2 shown]
	v_add_f64 v[82:83], v[104:105], v[82:83]
	v_add_f64 v[82:83], v[10:11], v[82:83]
	;; [unrolled: 1-line block ×7, first 2 shown]
	v_accvgpr_read_b32 v6, a74
	v_add_f64 v[2:3], v[2:3], v[4:5]
	v_mul_f64 v[4:5], v[190:191], s[24:25]
	v_accvgpr_read_b32 v7, a75
	v_accvgpr_read_b32 v115, a71
	v_add_f64 v[4:5], v[4:5], -v[6:7]
	v_mul_f64 v[6:7], v[176:177], s[16:17]
	v_accvgpr_read_b32 v114, a70
	v_accvgpr_read_b32 v117, a67
	v_mul_f64 v[82:83], v[130:131], s[0:1]
	v_mul_f64 v[78:79], v[130:131], s[18:19]
	;; [unrolled: 1-line block ×3, first 2 shown]
	v_add_f64 v[6:7], v[6:7], -v[114:115]
	v_mul_f64 v[114:115], v[170:171], s[0:1]
	v_accvgpr_read_b32 v116, a66
	v_accvgpr_read_b32 v131, a65
	v_mul_f64 v[80:81], v[132:133], s[0:1]
	v_mul_f64 v[104:105], v[132:133], s[18:19]
	v_add_f64 v[114:115], v[114:115], -v[116:117]
	v_mul_f64 v[116:117], v[162:163], s[18:19]
	v_accvgpr_read_b32 v130, a64
	v_accvgpr_read_b32 v133, a63
	v_add_f64 v[116:117], v[116:117], -v[130:131]
	v_mul_f64 v[130:131], v[156:157], s[10:11]
	v_accvgpr_read_b32 v132, a62
	v_accvgpr_read_b32 v135, a61
	v_mul_f64 v[112:113], v[142:143], s[18:19]
	v_add_f64 v[130:131], v[130:131], -v[132:133]
	v_mul_f64 v[132:133], v[148:149], s[22:23]
	v_accvgpr_read_b32 v134, a60
	v_mul_f64 v[136:137], v[142:143], s[16:17]
	v_accvgpr_read_b32 v143, a57
	v_mul_f64 v[76:77], v[140:141], s[18:19]
	v_add_f64 v[132:133], v[132:133], -v[134:135]
	v_mul_f64 v[134:135], v[140:141], s[16:17]
	v_mul_f64 v[138:139], v[140:141], s[20:21]
	v_accvgpr_read_b32 v141, a59
	v_accvgpr_read_b32 v142, a56
	;; [unrolled: 1-line block ×3, first 2 shown]
	v_add_f64 v[106:107], v[106:107], -v[142:143]
	v_add_f64 v[138:139], v[138:139], -v[140:141]
	v_add_f64 v[106:107], v[8:9], v[106:107]
	v_add_f64 v[106:107], v[138:139], v[106:107]
	;; [unrolled: 1-line block ×6, first 2 shown]
	v_mul_f64 v[142:143], v[150:151], s[8:9]
	v_mul_f64 v[146:147], v[150:151], s[20:21]
	;; [unrolled: 1-line block ×4, first 2 shown]
	v_add_f64 v[6:7], v[6:7], v[106:107]
	v_mul_f64 v[106:107], v[172:173], s[20:21]
	v_mul_f64 v[158:159], v[172:173], s[10:11]
	v_accvgpr_read_b32 v173, a51
	v_accvgpr_read_b32 v172, a50
	v_accvgpr_write_b32 a92, v152
	v_add_f64 v[158:159], v[172:173], v[158:159]
	v_accvgpr_read_b32 v173, a47
	v_accvgpr_write_b32 a93, v153
	v_accvgpr_write_b32 a94, v154
	;; [unrolled: 1-line block ×3, first 2 shown]
	v_mul_f64 v[154:155], v[164:165], s[24:25]
	v_accvgpr_read_b32 v172, a46
	v_add_f64 v[154:155], v[172:173], v[154:155]
	v_accvgpr_read_b32 v173, a43
	v_accvgpr_read_b32 v172, a42
	v_add_f64 v[150:151], v[172:173], v[150:151]
	v_accvgpr_read_b32 v173, a39
	;; [unrolled: 3-line block ×4, first 2 shown]
	v_accvgpr_read_b32 v172, a32
	v_add_f64 v[104:105], v[172:173], v[104:105]
	v_add_f64 v[104:105], v[10:11], v[104:105]
	;; [unrolled: 1-line block ×5, first 2 shown]
	v_accvgpr_read_b32 v151, a31
	v_mul_f64 v[140:141], v[148:149], s[8:9]
	v_mul_f64 v[144:145], v[148:149], s[20:21]
	;; [unrolled: 1-line block ×3, first 2 shown]
	v_accvgpr_read_b32 v150, a30
	v_add_f64 v[148:149], v[148:149], -v[150:151]
	v_accvgpr_read_b32 v151, a29
	v_accvgpr_read_b32 v150, a28
	v_add_f64 v[144:145], v[144:145], -v[150:151]
	v_accvgpr_read_b32 v151, a27
	;; [unrolled: 3-line block ×3, first 2 shown]
	v_accvgpr_read_b32 v150, a24
	v_add_f64 v[78:79], v[78:79], -v[150:151]
	v_add_f64 v[78:79], v[8:9], v[78:79]
	v_accvgpr_read_b32 v147, a37
	v_add_f64 v[78:79], v[134:135], v[78:79]
	v_mul_f64 v[152:153], v[162:163], s[24:25]
	v_accvgpr_read_b32 v137, a41
	v_accvgpr_read_b32 v146, a36
	v_add_f64 v[78:79], v[144:145], v[78:79]
	v_mul_f64 v[138:139], v[156:157], s[16:17]
	v_mul_f64 v[156:157], v[170:171], s[10:11]
	v_accvgpr_read_b32 v136, a40
	v_add_f64 v[146:147], v[152:153], -v[146:147]
	v_add_f64 v[78:79], v[148:149], v[78:79]
	v_add_f64 v[136:137], v[156:157], -v[136:137]
	v_add_f64 v[78:79], v[146:147], v[78:79]
	v_add_f64 v[78:79], v[136:137], v[78:79]
	v_accvgpr_read_b32 v137, a131
	v_accvgpr_read_b32 v136, a130
	v_add_f64 v[112:113], v[136:137], v[112:113]
	v_accvgpr_read_b32 v137, a127
	v_accvgpr_read_b32 v136, a126
	v_add_f64 v[80:81], v[136:137], v[80:81]
	v_add_f64 v[80:81], v[10:11], v[80:81]
	;; [unrolled: 1-line block ×3, first 2 shown]
	v_accvgpr_read_b32 v112, a112
	v_mul_f64 v[130:131], v[162:163], s[10:11]
	v_accvgpr_read_b32 v113, a113
	v_accvgpr_read_b32 v135, a15
	v_add_f64 v[112:113], v[130:131], -v[112:113]
	v_accvgpr_read_b32 v131, a123
	v_accvgpr_read_b32 v134, a14
	;; [unrolled: 1-line block ×3, first 2 shown]
	v_add_f64 v[106:107], v[134:135], v[106:107]
	v_accvgpr_read_b32 v135, a121
	v_add_f64 v[76:77], v[76:77], -v[130:131]
	v_accvgpr_read_b32 v131, a115
	v_mul_f64 v[116:117], v[164:165], s[10:11]
	v_accvgpr_read_b32 v134, a120
	v_accvgpr_read_b32 v130, a114
	v_add_f64 v[116:117], v[134:135], v[116:117]
	v_accvgpr_read_b32 v134, a134
	v_add_f64 v[82:83], v[82:83], -v[130:131]
	v_accvgpr_read_b32 v135, a135
	v_add_f64 v[82:83], v[8:9], v[82:83]
	v_add_f64 v[10:11], v[10:11], v[14:15]
	;; [unrolled: 1-line block ×4, first 2 shown]
	v_accvgpr_read_b32 v135, a133
	v_add_f64 v[10:11], v[10:11], v[18:19]
	v_add_f64 v[8:9], v[8:9], v[16:17]
	;; [unrolled: 1-line block ×4, first 2 shown]
	v_accvgpr_read_b32 v6, a54
	v_accvgpr_read_b32 v134, a132
	v_add_f64 v[10:11], v[10:11], v[22:23]
	v_add_f64 v[8:9], v[8:9], v[20:21]
	v_mul_f64 v[4:5], v[196:197], s[0:1]
	v_accvgpr_read_b32 v7, a55
	v_accvgpr_read_b32 v167, a53
	v_add_f64 v[134:135], v[134:135], v[142:143]
	v_add_f64 v[10:11], v[10:11], v[26:27]
	;; [unrolled: 1-line block ×4, first 2 shown]
	v_mul_f64 v[6:7], v[174:175], s[8:9]
	v_accvgpr_read_b32 v166, a52
	v_add_f64 v[104:105], v[154:155], v[104:105]
	v_add_f64 v[80:81], v[134:135], v[80:81]
	;; [unrolled: 1-line block ×10, first 2 shown]
	v_accvgpr_read_b32 v105, a45
	v_add_f64 v[80:81], v[116:117], v[80:81]
	v_add_f64 v[10:11], v[10:11], v[38:39]
	;; [unrolled: 1-line block ×3, first 2 shown]
	v_mul_f64 v[164:165], v[176:177], s[8:9]
	v_add_f64 v[6:7], v[4:5], v[6:7]
	v_accvgpr_read_b32 v4, a48
	v_accvgpr_read_b32 v104, a44
	v_add_f64 v[80:81], v[106:107], v[80:81]
	v_accvgpr_read_b32 v106, a118
	v_add_f64 v[10:11], v[10:11], v[42:43]
	v_add_f64 v[8:9], v[8:9], v[40:41]
	v_mul_f64 v[114:115], v[170:171], s[20:21]
	v_mul_f64 v[170:171], v[190:191], s[0:1]
	v_accvgpr_read_b32 v5, a49
	v_add_f64 v[104:105], v[164:165], -v[104:105]
	v_accvgpr_read_b32 v107, a119
	v_accvgpr_read_b32 v116, a124
	v_add_f64 v[10:11], v[10:11], v[46:47]
	v_add_f64 v[8:9], v[8:9], v[44:45]
	v_add_f64 v[4:5], v[170:171], -v[4:5]
	v_add_f64 v[78:79], v[104:105], v[78:79]
	v_accvgpr_read_b32 v105, a19
	v_add_f64 v[106:107], v[114:115], -v[106:107]
	v_accvgpr_read_b32 v114, a128
	v_accvgpr_read_b32 v117, a125
	v_add_f64 v[10:11], v[10:11], v[50:51]
	v_add_f64 v[8:9], v[8:9], v[48:49]
	v_mul_f64 v[162:163], v[174:175], s[24:25]
	v_add_f64 v[4:5], v[4:5], v[78:79]
	v_accvgpr_read_b32 v79, a23
	v_accvgpr_read_b32 v104, a18
	;; [unrolled: 1-line block ×3, first 2 shown]
	v_add_f64 v[116:117], v[140:141], -v[116:117]
	v_add_f64 v[76:77], v[76:77], v[82:83]
	v_add_f64 v[10:11], v[10:11], v[54:55]
	;; [unrolled: 1-line block ×3, first 2 shown]
	v_mul_f64 v[168:169], v[196:197], s[22:23]
	v_accvgpr_read_b32 v78, a22
	v_add_f64 v[104:105], v[104:105], v[162:163]
	v_add_f64 v[114:115], v[138:139], -v[114:115]
	v_add_f64 v[76:77], v[116:117], v[76:77]
	v_add_f64 v[10:11], v[10:11], v[58:59]
	;; [unrolled: 1-line block ×3, first 2 shown]
	v_accvgpr_read_b32 v145, a3
	v_add_f64 v[78:79], v[78:79], v[168:169]
	v_add_f64 v[80:81], v[104:105], v[80:81]
	v_accvgpr_read_b32 v105, a17
	v_add_f64 v[76:77], v[114:115], v[76:77]
	v_add_f64 v[10:11], v[10:11], v[62:63]
	;; [unrolled: 1-line block ×4, first 2 shown]
	v_mul_f64 v[160:161], v[176:177], s[24:25]
	v_accvgpr_read_b32 v144, a2
	v_add_f64 v[78:79], v[78:79], v[80:81]
	v_accvgpr_read_b32 v81, a21
	v_accvgpr_read_b32 v104, a16
	v_add_f64 v[76:77], v[112:113], v[76:77]
	v_add_f64 v[10:11], v[10:11], v[66:67]
	;; [unrolled: 1-line block ×3, first 2 shown]
	v_accvgpr_read_b32 v245, a13
	v_accvgpr_read_b32 v241, a9
	v_mul_f64 v[166:167], v[190:191], s[22:23]
	v_accvgpr_read_b32 v80, a20
	v_add_f64 v[104:105], v[160:161], -v[104:105]
	v_add_f64 v[76:77], v[106:107], v[76:77]
	v_add_f64 v[10:11], v[10:11], v[70:71]
	;; [unrolled: 1-line block ×3, first 2 shown]
	v_mul_lo_u16_e32 v12, 17, v144
	v_accvgpr_read_b32 v13, a1
	v_accvgpr_read_b32 v244, a12
	;; [unrolled: 1-line block ×7, first 2 shown]
	v_add_f64 v[80:81], v[166:167], -v[80:81]
	v_add_f64 v[76:77], v[104:105], v[76:77]
	v_add_f64 v[10:11], v[10:11], v[74:75]
	;; [unrolled: 1-line block ×3, first 2 shown]
	v_add_lshl_u32 v12, v13, v12, 4
	v_add_f64 v[76:77], v[80:81], v[76:77]
	ds_write_b128 v12, v[8:11]
	ds_write_b128 v12, v[76:79] offset:16
	ds_write_b128 v12, v[4:7] offset:32
	ds_write_b128 v12, v[0:3] offset:48
	ds_write_b128 v12, v[100:103] offset:64
	ds_write_b128 v12, v[96:99] offset:80
	ds_write_b128 v12, v[92:95] offset:96
	ds_write_b128 v12, v[88:91] offset:112
	ds_write_b128 v12, v[250:253] offset:128
	ds_write_b128 v12, a[92:95] offset:144
	ds_write_b128 v12, v[84:87] offset:160
	ds_write_b128 v12, v[126:129] offset:176
	ds_write_b128 v12, v[122:125] offset:192
	ds_write_b128 v12, v[118:121] offset:208
	ds_write_b128 v12, v[108:111] offset:224
	ds_write_b128 v12, a[10:13] offset:240
	ds_write_b128 v12, a[6:9] offset:256
.LBB0_7:
	s_or_b64 exec, exec, s[36:37]
	s_movk_i32 s0, 0xf1
	v_mul_lo_u16_sdwa v0, v144, s0 dst_sel:DWORD dst_unused:UNUSED_PAD src0_sel:BYTE_0 src1_sel:DWORD
	v_lshrrev_b16_e32 v24, 12, v0
	v_mul_lo_u16_e32 v0, 17, v24
	v_sub_u16_e32 v25, v144, v0
	v_mov_b32_e32 v0, 10
	v_mul_u32_u24_sdwa v0, v25, v0 dst_sel:DWORD dst_unused:UNUSED_PAD src0_sel:BYTE_0 src1_sel:DWORD
	v_lshlrev_b32_e32 v0, 4, v0
	s_load_dwordx4 s[8:11], s[2:3], 0x0
	s_waitcnt lgkmcnt(0)
	s_barrier
	global_load_dwordx4 v[38:41], v0, s[6:7]
	global_load_dwordx4 v[34:37], v0, s[6:7] offset:16
	global_load_dwordx4 v[54:57], v0, s[6:7] offset:32
	;; [unrolled: 1-line block ×9, first 2 shown]
	v_accvgpr_read_b32 v32, a1
	v_add_lshl_u32 v60, v32, v144, 4
	ds_read_b128 v[26:29], v60
	ds_read_b128 v[4:7], v60 offset:1360
	ds_read_b128 v[8:11], v60 offset:2720
	;; [unrolled: 1-line block ×10, first 2 shown]
	s_mov_b32 s26, 0xf8bb580b
	s_mov_b32 s18, 0x43842ef
	;; [unrolled: 1-line block ×26, first 2 shown]
	v_mul_u32_u24_e32 v24, 0xbb, v24
	v_add_u32_sdwa v24, v24, v25 dst_sel:DWORD dst_unused:UNUSED_PAD src0_sel:DWORD src1_sel:BYTE_0
	v_add_lshl_u32 v61, v32, v24, 4
	s_waitcnt lgkmcnt(0)
	s_barrier
	s_waitcnt vmcnt(9)
	v_mul_f64 v[30:31], v[6:7], v[40:41]
	v_mul_f64 v[90:91], v[4:5], v[40:41]
	s_waitcnt vmcnt(8)
	v_mul_f64 v[92:93], v[10:11], v[36:37]
	v_mul_f64 v[94:95], v[8:9], v[36:37]
	s_waitcnt vmcnt(5)
	v_mul_f64 v[100:101], v[68:69], v[138:139]
	v_fma_f64 v[30:31], v[4:5], v[38:39], -v[30:31]
	v_fmac_f64_e32 v[90:91], v[6:7], v[38:39]
	v_mul_f64 v[96:97], v[18:19], v[56:57]
	v_mul_f64 v[20:21], v[16:17], v[56:57]
	;; [unrolled: 1-line block ×3, first 2 shown]
	v_fma_f64 v[92:93], v[8:9], v[34:35], -v[92:93]
	v_fmac_f64_e32 v[94:95], v[10:11], v[34:35]
	v_fma_f64 v[4:5], v[66:67], v[136:137], -v[100:101]
	v_add_f64 v[10:11], v[26:27], v[30:31]
	v_add_f64 v[66:67], v[28:29], v[90:91]
	v_mul_f64 v[98:99], v[64:65], v[52:53]
	v_mul_f64 v[12:13], v[62:63], v[52:53]
	v_fma_f64 v[96:97], v[16:17], v[54:55], -v[96:97]
	v_fmac_f64_e32 v[20:21], v[18:19], v[54:55]
	v_add_f64 v[10:11], v[10:11], v[92:93]
	v_add_f64 v[66:67], v[66:67], v[94:95]
	v_fma_f64 v[16:17], v[62:63], v[50:51], -v[98:99]
	v_fmac_f64_e32 v[12:13], v[64:65], v[50:51]
	v_add_f64 v[10:11], v[10:11], v[96:97]
	v_add_f64 v[66:67], v[66:67], v[20:21]
	s_waitcnt vmcnt(4)
	v_mul_f64 v[102:103], v[72:73], v[134:135]
	v_mul_f64 v[2:3], v[70:71], v[134:135]
	v_fmac_f64_e32 v[0:1], v[68:69], v[136:137]
	v_add_f64 v[10:11], v[10:11], v[16:17]
	v_add_f64 v[66:67], v[66:67], v[12:13]
	s_waitcnt vmcnt(3)
	v_mul_f64 v[104:105], v[76:77], v[48:49]
	v_mul_f64 v[14:15], v[74:75], v[48:49]
	v_fma_f64 v[6:7], v[70:71], v[132:133], -v[102:103]
	v_fmac_f64_e32 v[2:3], v[72:73], v[132:133]
	v_add_f64 v[10:11], v[10:11], v[4:5]
	v_add_f64 v[66:67], v[66:67], v[0:1]
	s_waitcnt vmcnt(2)
	v_mul_f64 v[106:107], v[80:81], v[44:45]
	v_mul_f64 v[22:23], v[78:79], v[44:45]
	v_fma_f64 v[18:19], v[74:75], v[46:47], -v[104:105]
	v_fmac_f64_e32 v[14:15], v[76:77], v[46:47]
	v_add_f64 v[10:11], v[10:11], v[6:7]
	v_add_f64 v[66:67], v[66:67], v[2:3]
	s_waitcnt vmcnt(1)
	v_mul_f64 v[112:113], v[84:85], v[148:149]
	v_mul_f64 v[114:115], v[82:83], v[148:149]
	s_waitcnt vmcnt(0)
	v_mul_f64 v[116:117], v[88:89], v[142:143]
	v_mul_f64 v[130:131], v[86:87], v[142:143]
	v_fma_f64 v[62:63], v[78:79], v[42:43], -v[106:107]
	v_fmac_f64_e32 v[22:23], v[80:81], v[42:43]
	v_add_f64 v[10:11], v[10:11], v[18:19]
	v_add_f64 v[66:67], v[66:67], v[14:15]
	v_fma_f64 v[64:65], v[82:83], v[146:147], -v[112:113]
	v_fmac_f64_e32 v[114:115], v[84:85], v[146:147]
	v_fma_f64 v[8:9], v[86:87], v[140:141], -v[116:117]
	v_fmac_f64_e32 v[130:131], v[88:89], v[140:141]
	v_add_f64 v[10:11], v[10:11], v[62:63]
	v_add_f64 v[66:67], v[66:67], v[22:23]
	;; [unrolled: 1-line block ×3, first 2 shown]
	v_add_f64 v[30:31], v[30:31], -v[8:9]
	v_add_f64 v[72:73], v[90:91], -v[130:131]
	v_add_f64 v[10:11], v[10:11], v[64:65]
	v_add_f64 v[66:67], v[66:67], v[114:115]
	;; [unrolled: 1-line block ×5, first 2 shown]
	v_mul_f64 v[66:67], v[72:73], s[26:27]
	v_mul_f64 v[76:77], v[30:31], s[26:27]
	v_mul_f64 v[80:81], v[72:73], s[16:17]
	v_mul_f64 v[84:85], v[30:31], s[16:17]
	v_mul_f64 v[88:89], v[72:73], s[18:19]
	v_mul_f64 v[98:99], v[30:31], s[18:19]
	v_mul_f64 v[102:103], v[72:73], s[24:25]
	v_mul_f64 v[106:107], v[30:31], s[24:25]
	v_mul_f64 v[72:73], v[72:73], s[30:31]
	v_mul_f64 v[30:31], v[30:31], s[30:31]
	v_fma_f64 v[74:75], v[68:69], s[20:21], -v[66:67]
	v_fma_f64 v[78:79], s[20:21], v[70:71], v[76:77]
	v_fmac_f64_e32 v[66:67], s[20:21], v[68:69]
	v_fma_f64 v[76:77], v[70:71], s[20:21], -v[76:77]
	v_fma_f64 v[82:83], v[68:69], s[0:1], -v[80:81]
	v_fma_f64 v[86:87], s[0:1], v[70:71], v[84:85]
	v_fmac_f64_e32 v[80:81], s[0:1], v[68:69]
	v_fma_f64 v[84:85], v[70:71], s[0:1], -v[84:85]
	;; [unrolled: 4-line block ×5, first 2 shown]
	v_add_f64 v[70:71], v[94:95], -v[114:115]
	v_add_f64 v[74:75], v[26:27], v[74:75]
	v_add_f64 v[78:79], v[28:29], v[78:79]
	;; [unrolled: 1-line block ×21, first 2 shown]
	v_mul_f64 v[72:73], v[70:71], s[16:17]
	v_add_f64 v[64:65], v[92:93], -v[64:65]
	v_fma_f64 v[92:93], v[30:31], s[0:1], -v[72:73]
	v_add_f64 v[68:69], v[94:95], v[114:115]
	v_add_f64 v[74:75], v[92:93], v[74:75]
	v_mul_f64 v[92:93], v[64:65], s[16:17]
	v_fmac_f64_e32 v[72:73], s[0:1], v[30:31]
	v_add_f64 v[66:67], v[72:73], v[66:67]
	v_fma_f64 v[72:73], v[68:69], s[0:1], -v[92:93]
	v_add_f64 v[72:73], v[72:73], v[76:77]
	v_mul_f64 v[76:77], v[70:71], s[24:25]
	v_fma_f64 v[94:95], s[0:1], v[68:69], v[92:93]
	v_fma_f64 v[92:93], v[30:31], s[22:23], -v[76:77]
	v_add_f64 v[82:83], v[92:93], v[82:83]
	v_mul_f64 v[92:93], v[64:65], s[24:25]
	v_fmac_f64_e32 v[76:77], s[22:23], v[30:31]
	v_add_f64 v[76:77], v[76:77], v[80:81]
	v_fma_f64 v[80:81], v[68:69], s[22:23], -v[92:93]
	v_add_f64 v[80:81], v[80:81], v[84:85]
	v_mul_f64 v[84:85], v[70:71], s[38:39]
	v_add_f64 v[78:79], v[94:95], v[78:79]
	v_fma_f64 v[94:95], s[22:23], v[68:69], v[92:93]
	v_fma_f64 v[92:93], v[30:31], s[28:29], -v[84:85]
	v_add_f64 v[90:91], v[92:93], v[90:91]
	v_mul_f64 v[92:93], v[64:65], s[38:39]
	v_fmac_f64_e32 v[84:85], s[28:29], v[30:31]
	v_add_f64 v[86:87], v[94:95], v[86:87]
	v_fma_f64 v[94:95], s[28:29], v[68:69], v[92:93]
	v_add_f64 v[84:85], v[84:85], v[88:89]
	v_fma_f64 v[88:89], v[68:69], s[28:29], -v[92:93]
	v_mul_f64 v[92:93], v[70:71], s[36:37]
	v_add_f64 v[94:95], v[94:95], v[100:101]
	v_add_f64 v[88:89], v[88:89], v[98:99]
	v_fma_f64 v[98:99], v[30:31], s[2:3], -v[92:93]
	v_mul_f64 v[100:101], v[64:65], s[36:37]
	v_add_f64 v[98:99], v[98:99], v[104:105]
	v_fma_f64 v[104:105], s[2:3], v[68:69], v[100:101]
	v_fmac_f64_e32 v[92:93], s[2:3], v[30:31]
	v_fma_f64 v[100:101], v[68:69], s[2:3], -v[100:101]
	v_mul_f64 v[70:71], v[70:71], s[34:35]
	v_mul_f64 v[64:65], v[64:65], s[34:35]
	v_add_f64 v[92:93], v[92:93], v[102:103]
	v_add_f64 v[100:101], v[100:101], v[106:107]
	v_fma_f64 v[102:103], v[30:31], s[20:21], -v[70:71]
	v_fma_f64 v[106:107], s[20:21], v[68:69], v[64:65]
	v_fmac_f64_e32 v[70:71], s[20:21], v[30:31]
	v_fma_f64 v[30:31], v[68:69], s[20:21], -v[64:65]
	v_add_f64 v[64:65], v[20:21], v[22:23]
	v_add_f64 v[20:21], v[20:21], -v[22:23]
	v_add_f64 v[28:29], v[30:31], v[28:29]
	v_add_f64 v[30:31], v[96:97], v[62:63]
	v_add_f64 v[62:63], v[96:97], -v[62:63]
	v_mul_f64 v[22:23], v[20:21], s[18:19]
	v_add_f64 v[26:27], v[70:71], v[26:27]
	v_fma_f64 v[68:69], v[30:31], s[2:3], -v[22:23]
	v_mul_f64 v[70:71], v[62:63], s[18:19]
	v_fmac_f64_e32 v[22:23], s[2:3], v[30:31]
	v_add_f64 v[68:69], v[68:69], v[74:75]
	v_fma_f64 v[74:75], s[2:3], v[64:65], v[70:71]
	v_add_f64 v[22:23], v[22:23], v[66:67]
	v_fma_f64 v[66:67], v[64:65], s[2:3], -v[70:71]
	v_mul_f64 v[70:71], v[20:21], s[38:39]
	v_add_f64 v[74:75], v[74:75], v[78:79]
	v_add_f64 v[66:67], v[66:67], v[72:73]
	v_fma_f64 v[72:73], v[30:31], s[28:29], -v[70:71]
	v_mul_f64 v[78:79], v[62:63], s[38:39]
	v_fmac_f64_e32 v[70:71], s[28:29], v[30:31]
	s_mov_b32 s17, 0x3fed1bb4
	v_add_f64 v[72:73], v[72:73], v[82:83]
	v_fma_f64 v[82:83], s[28:29], v[64:65], v[78:79]
	v_add_f64 v[70:71], v[70:71], v[76:77]
	v_fma_f64 v[76:77], v[64:65], s[28:29], -v[78:79]
	v_mul_f64 v[78:79], v[20:21], s[16:17]
	v_add_f64 v[82:83], v[82:83], v[86:87]
	v_add_f64 v[76:77], v[76:77], v[80:81]
	v_fma_f64 v[80:81], v[30:31], s[0:1], -v[78:79]
	v_mul_f64 v[86:87], v[62:63], s[16:17]
	v_fmac_f64_e32 v[78:79], s[0:1], v[30:31]
	v_add_f64 v[80:81], v[80:81], v[90:91]
	v_fma_f64 v[90:91], s[0:1], v[64:65], v[86:87]
	v_add_f64 v[78:79], v[78:79], v[84:85]
	v_fma_f64 v[84:85], v[64:65], s[0:1], -v[86:87]
	v_mul_f64 v[86:87], v[20:21], s[26:27]
	v_add_f64 v[90:91], v[90:91], v[94:95]
	v_add_f64 v[84:85], v[84:85], v[88:89]
	v_fma_f64 v[88:89], v[30:31], s[20:21], -v[86:87]
	v_mul_f64 v[94:95], v[62:63], s[26:27]
	v_fmac_f64_e32 v[86:87], s[20:21], v[30:31]
	v_mul_f64 v[20:21], v[20:21], s[24:25]
	v_fma_f64 v[96:97], s[20:21], v[64:65], v[94:95]
	v_add_f64 v[86:87], v[86:87], v[92:93]
	v_fma_f64 v[92:93], v[64:65], s[20:21], -v[94:95]
	v_fma_f64 v[94:95], v[30:31], s[22:23], -v[20:21]
	v_mul_f64 v[62:63], v[62:63], s[24:25]
	v_fmac_f64_e32 v[20:21], s[22:23], v[30:31]
	v_add_f64 v[20:21], v[20:21], v[26:27]
	v_fma_f64 v[26:27], v[64:65], s[22:23], -v[62:63]
	v_add_f64 v[30:31], v[12:13], v[14:15]
	v_add_f64 v[12:13], v[12:13], -v[14:15]
	v_add_f64 v[26:27], v[26:27], v[28:29]
	v_add_f64 v[28:29], v[16:17], v[18:19]
	v_add_f64 v[16:17], v[16:17], -v[18:19]
	v_mul_f64 v[14:15], v[12:13], s[24:25]
	v_add_f64 v[88:89], v[88:89], v[98:99]
	v_fma_f64 v[98:99], s[22:23], v[64:65], v[62:63]
	v_fma_f64 v[18:19], v[28:29], s[22:23], -v[14:15]
	v_mul_f64 v[62:63], v[16:17], s[24:25]
	v_fmac_f64_e32 v[14:15], s[22:23], v[28:29]
	v_fma_f64 v[64:65], s[22:23], v[30:31], v[62:63]
	v_add_f64 v[14:15], v[14:15], v[22:23]
	v_fma_f64 v[22:23], v[30:31], s[22:23], -v[62:63]
	v_mul_f64 v[62:63], v[12:13], s[36:37]
	v_add_f64 v[22:23], v[22:23], v[66:67]
	v_fma_f64 v[66:67], v[28:29], s[2:3], -v[62:63]
	v_fmac_f64_e32 v[62:63], s[2:3], v[28:29]
	v_add_f64 v[18:19], v[18:19], v[68:69]
	v_mul_f64 v[68:69], v[16:17], s[36:37]
	v_add_f64 v[62:63], v[62:63], v[70:71]
	v_mul_f64 v[70:71], v[12:13], s[26:27]
	v_add_f64 v[64:65], v[64:65], v[74:75]
	v_add_f64 v[66:67], v[66:67], v[72:73]
	v_fma_f64 v[72:73], s[2:3], v[30:31], v[68:69]
	v_fma_f64 v[68:69], v[30:31], s[2:3], -v[68:69]
	v_fma_f64 v[74:75], v[28:29], s[20:21], -v[70:71]
	v_fmac_f64_e32 v[70:71], s[20:21], v[28:29]
	v_add_f64 v[68:69], v[68:69], v[76:77]
	v_mul_f64 v[76:77], v[16:17], s[26:27]
	v_add_f64 v[70:71], v[70:71], v[78:79]
	v_mul_f64 v[78:79], v[12:13], s[30:31]
	v_add_f64 v[104:105], v[104:105], v[112:113]
	v_add_f64 v[102:103], v[102:103], v[116:117]
	;; [unrolled: 1-line block ×4, first 2 shown]
	v_fma_f64 v[80:81], s[20:21], v[30:31], v[76:77]
	v_fma_f64 v[76:77], v[30:31], s[20:21], -v[76:77]
	v_fma_f64 v[82:83], v[28:29], s[28:29], -v[78:79]
	v_fmac_f64_e32 v[78:79], s[28:29], v[28:29]
	v_mul_f64 v[12:13], v[12:13], s[16:17]
	v_add_f64 v[96:97], v[96:97], v[104:105]
	v_add_f64 v[94:95], v[94:95], v[102:103]
	;; [unrolled: 1-line block ×3, first 2 shown]
	v_mul_f64 v[84:85], v[16:17], s[30:31]
	v_add_f64 v[78:79], v[78:79], v[86:87]
	v_fma_f64 v[86:87], v[28:29], s[0:1], -v[12:13]
	v_add_f64 v[104:105], v[0:1], -v[2:3]
	v_add_f64 v[92:93], v[92:93], v[100:101]
	v_add_f64 v[82:83], v[82:83], v[88:89]
	v_fma_f64 v[88:89], s[28:29], v[30:31], v[84:85]
	v_fma_f64 v[84:85], v[30:31], s[28:29], -v[84:85]
	v_add_f64 v[86:87], v[86:87], v[94:95]
	v_mul_f64 v[16:17], v[16:17], s[16:17]
	v_fmac_f64_e32 v[12:13], s[0:1], v[28:29]
	v_add_f64 v[94:95], v[4:5], v[6:7]
	v_add_f64 v[102:103], v[4:5], -v[6:7]
	v_mul_f64 v[4:5], v[104:105], s[30:31]
	v_add_f64 v[106:107], v[106:107], v[130:131]
	v_add_f64 v[84:85], v[84:85], v[92:93]
	;; [unrolled: 1-line block ×3, first 2 shown]
	v_fma_f64 v[12:13], v[30:31], s[0:1], -v[16:17]
	v_add_f64 v[100:101], v[0:1], v[2:3]
	v_fma_f64 v[0:1], v[94:95], s[28:29], -v[4:5]
	v_mul_f64 v[6:7], v[102:103], s[30:31]
	v_fmac_f64_e32 v[4:5], s[28:29], v[94:95]
	v_add_f64 v[98:99], v[98:99], v[106:107]
	v_add_f64 v[80:81], v[80:81], v[90:91]
	;; [unrolled: 1-line block ×3, first 2 shown]
	v_fma_f64 v[90:91], s[0:1], v[30:31], v[16:17]
	v_add_f64 v[30:31], v[12:13], v[26:27]
	v_add_f64 v[96:97], v[4:5], v[14:15]
	v_fma_f64 v[4:5], v[100:101], s[28:29], -v[6:7]
	v_mul_f64 v[12:13], v[104:105], s[34:35]
	v_mul_f64 v[14:15], v[102:103], s[34:35]
	;; [unrolled: 1-line block ×3, first 2 shown]
	v_add_f64 v[90:91], v[90:91], v[98:99]
	v_fma_f64 v[2:3], s[28:29], v[100:101], v[6:7]
	v_add_f64 v[98:99], v[4:5], v[22:23]
	v_fma_f64 v[4:5], v[94:95], s[20:21], -v[12:13]
	v_fma_f64 v[6:7], s[20:21], v[100:101], v[14:15]
	v_fmac_f64_e32 v[12:13], s[20:21], v[94:95]
	v_fma_f64 v[16:17], v[94:95], s[22:23], -v[20:21]
	v_fmac_f64_e32 v[20:21], s[22:23], v[94:95]
	v_add_f64 v[2:3], v[2:3], v[64:65]
	v_add_f64 v[6:7], v[6:7], v[72:73]
	;; [unrolled: 1-line block ×3, first 2 shown]
	v_fma_f64 v[14:15], v[100:101], s[20:21], -v[14:15]
	v_mul_f64 v[22:23], v[102:103], s[24:25]
	v_add_f64 v[20:21], v[20:21], v[70:71]
	v_mul_f64 v[62:63], v[104:105], s[16:17]
	v_mul_f64 v[64:65], v[102:103], s[16:17]
	;; [unrolled: 1-line block ×4, first 2 shown]
	v_accvgpr_write_b32 a50, v136
	v_accvgpr_write_b32 a46, v132
	;; [unrolled: 1-line block ×4, first 2 shown]
	v_add_f64 v[0:1], v[0:1], v[18:19]
	v_add_f64 v[4:5], v[4:5], v[66:67]
	;; [unrolled: 1-line block ×3, first 2 shown]
	v_fma_f64 v[18:19], s[22:23], v[100:101], v[22:23]
	v_fma_f64 v[22:23], v[100:101], s[22:23], -v[22:23]
	v_fma_f64 v[26:27], v[94:95], s[0:1], -v[62:63]
	v_fma_f64 v[28:29], s[0:1], v[100:101], v[64:65]
	v_fmac_f64_e32 v[62:63], s[0:1], v[94:95]
	v_fma_f64 v[64:65], v[100:101], s[0:1], -v[64:65]
	v_fma_f64 v[66:67], v[94:95], s[2:3], -v[70:71]
	v_fma_f64 v[68:69], s[2:3], v[100:101], v[72:73]
	v_fmac_f64_e32 v[70:71], s[2:3], v[94:95]
	v_fma_f64 v[72:73], v[100:101], s[2:3], -v[72:73]
	v_accvgpr_write_b32 a51, v137
	v_accvgpr_write_b32 a52, v138
	v_accvgpr_write_b32 a53, v139
	v_accvgpr_write_b32 a47, v133
	v_accvgpr_write_b32 a48, v134
	v_accvgpr_write_b32 a49, v135
	v_accvgpr_write_b32 a59, v147
	v_accvgpr_write_b32 a60, v148
	v_accvgpr_write_b32 a61, v149
	v_accvgpr_write_b32 a55, v141
	v_accvgpr_write_b32 a56, v142
	v_accvgpr_write_b32 a57, v143
	v_add_f64 v[16:17], v[16:17], v[74:75]
	v_add_f64 v[18:19], v[18:19], v[80:81]
	;; [unrolled: 1-line block ×11, first 2 shown]
	ds_write_b128 v61, v[8:11]
	ds_write_b128 v61, v[0:3] offset:272
	ds_write_b128 v61, v[4:7] offset:544
	;; [unrolled: 1-line block ×10, first 2 shown]
	s_waitcnt lgkmcnt(0)
	s_barrier
	ds_read_b128 v[100:103], v60
	ds_read_b128 v[104:107], v60 offset:1360
	v_mov_b64_e32 v[0:1], v[144:145]
	ds_read_b128 v[142:145], v60 offset:2992
	ds_read_b128 v[112:115], v60 offset:4352
	;; [unrolled: 1-line block ×8, first 2 shown]
	v_accvgpr_write_b32 a34, v38
	v_accvgpr_write_b32 a30, v34
	;; [unrolled: 1-line block ×16, first 2 shown]
	v_cmp_gt_u16_e64 s[2:3], 17, v0
	s_and_saveexec_b64 s[0:1], s[2:3]
	s_cbranch_execz .LBB0_9
; %bb.8:
	ds_read_b128 v[96:99], v60 offset:2720
	ds_read_b128 v[126:129], v60 offset:5712
	;; [unrolled: 1-line block ×5, first 2 shown]
.LBB0_9:
	s_or_b64 exec, exec, s[0:1]
	v_accvgpr_read_b32 v33, a3
	v_accvgpr_read_b32 v32, a2
	v_lshlrev_b32_e32 v0, 6, v32
	s_movk_i32 s16, 0xffef
	global_load_dwordx4 v[76:79], v0, s[6:7] offset:2720
	global_load_dwordx4 v[72:75], v0, s[6:7] offset:2736
	;; [unrolled: 1-line block ×4, first 2 shown]
	v_add_u32_e32 v0, 0x1540, v0
	s_mov_b64 s[0:1], 0xaa
	s_mov_b32 s17, -1
	global_load_dwordx4 v[92:95], v0, s[6:7] offset:2720
	global_load_dwordx4 v[88:91], v0, s[6:7] offset:2736
	;; [unrolled: 1-line block ×4, first 2 shown]
	v_lshl_add_u64 v[0:1], v[32:33], 0, s[0:1]
	v_lshl_add_u64 v[2:3], v[32:33], 0, s[16:17]
	v_cndmask_b32_e64 v1, v3, v1, s[2:3]
	v_cndmask_b32_e64 v0, v2, v0, s[2:3]
	v_lshlrev_b64 v[0:1], 6, v[0:1]
	v_lshl_add_u64 v[0:1], s[6:7], 0, v[0:1]
	global_load_dwordx4 v[38:41], v[0:1], off offset:2720
	global_load_dwordx4 v[46:49], v[0:1], off offset:2736
	;; [unrolled: 1-line block ×4, first 2 shown]
	s_mov_b32 s6, 0x134454ff
	s_mov_b32 s7, 0x3fee6f0e
	;; [unrolled: 1-line block ×10, first 2 shown]
	s_waitcnt vmcnt(11) lgkmcnt(7)
	v_mul_f64 v[0:1], v[144:145], v[78:79]
	s_waitcnt vmcnt(10) lgkmcnt(5)
	v_mul_f64 v[2:3], v[148:149], v[74:75]
	;; [unrolled: 2-line block ×3, first 2 shown]
	v_mul_f64 v[8:9], v[142:143], v[78:79]
	s_waitcnt vmcnt(8) lgkmcnt(1)
	v_mul_f64 v[6:7], v[156:157], v[26:27]
	v_mul_f64 v[14:15], v[154:155], v[26:27]
	v_fma_f64 v[16:17], v[142:143], v[76:77], -v[0:1]
	v_fma_f64 v[18:19], v[146:147], v[72:73], -v[2:3]
	;; [unrolled: 1-line block ×3, first 2 shown]
	v_accvgpr_write_b32 a65, v27
	s_waitcnt vmcnt(7)
	v_mul_f64 v[0:1], v[114:115], v[94:95]
	s_waitcnt vmcnt(6)
	v_mul_f64 v[2:3], v[132:133], v[90:91]
	v_mul_f64 v[10:11], v[146:147], v[74:75]
	;; [unrolled: 1-line block ×3, first 2 shown]
	v_fmac_f64_e32 v[8:9], v[144:145], v[76:77]
	v_fma_f64 v[22:23], v[154:155], v[24:25], -v[6:7]
	v_accvgpr_write_b32 a64, v26
	v_accvgpr_write_b32 a63, v25
	;; [unrolled: 1-line block ×3, first 2 shown]
	v_fmac_f64_e32 v[14:15], v[156:157], v[24:25]
	v_mul_f64 v[24:25], v[112:113], v[94:95]
	s_waitcnt vmcnt(4) lgkmcnt(0)
	v_mul_f64 v[6:7], v[140:141], v[82:83]
	v_fma_f64 v[62:63], v[112:113], v[92:93], -v[0:1]
	v_fma_f64 v[142:143], v[130:131], v[88:89], -v[2:3]
	v_add_f64 v[0:1], v[100:101], v[16:17]
	v_add_f64 v[2:3], v[18:19], v[20:21]
	v_fmac_f64_e32 v[10:11], v[148:149], v[72:73]
	v_fmac_f64_e32 v[12:13], v[152:153], v[68:69]
	v_mul_f64 v[26:27], v[130:131], v[90:91]
	v_mul_f64 v[4:5], v[136:137], v[86:87]
	v_fmac_f64_e32 v[24:25], v[114:115], v[92:93]
	v_fma_f64 v[130:131], v[138:139], v[80:81], -v[6:7]
	v_add_f64 v[114:115], v[8:9], -v[14:15]
	v_add_f64 v[112:113], v[0:1], v[18:19]
	v_fma_f64 v[116:117], -0.5, v[2:3], v[100:101]
	s_waitcnt vmcnt(0)
	v_mul_f64 v[6:7], v[108:109], v[36:37]
	v_mul_f64 v[28:29], v[134:135], v[86:87]
	v_fmac_f64_e32 v[26:27], v[132:133], v[88:89]
	v_fma_f64 v[144:145], v[134:135], v[84:85], -v[4:5]
	v_add_f64 v[132:133], v[10:11], -v[12:13]
	v_add_f64 v[134:135], v[16:17], -v[18:19]
	v_mul_f64 v[146:147], v[110:111], v[36:37]
	v_add_f64 v[148:149], v[112:113], v[20:21]
	v_fma_f64 v[112:113], s[6:7], v[114:115], v[116:117]
	v_fmac_f64_e32 v[6:7], v[110:111], v[34:35]
	v_add_f64 v[110:111], v[22:23], -v[20:21]
	v_fmac_f64_e32 v[116:117], s[18:19], v[114:115]
	v_fmac_f64_e32 v[112:113], s[0:1], v[132:133]
	v_add_f64 v[110:111], v[134:135], v[110:111]
	v_fmac_f64_e32 v[116:117], s[20:21], v[132:133]
	v_fmac_f64_e32 v[112:113], s[16:17], v[110:111]
	;; [unrolled: 1-line block ×3, first 2 shown]
	v_add_f64 v[110:111], v[16:17], v[22:23]
	v_mul_f64 v[30:31], v[138:139], v[82:83]
	v_mul_f64 v[4:5], v[118:119], v[44:45]
	v_fmac_f64_e32 v[100:101], -0.5, v[110:111]
	v_fmac_f64_e32 v[30:31], v[140:141], v[80:81]
	v_mul_f64 v[140:141], v[120:121], v[44:45]
	v_fmac_f64_e32 v[4:5], v[120:121], v[42:43]
	v_fma_f64 v[120:121], s[18:19], v[132:133], v[100:101]
	v_fmac_f64_e32 v[100:101], s[6:7], v[132:133]
	v_fma_f64 v[158:159], v[118:119], v[42:43], -v[140:141]
	v_fmac_f64_e32 v[120:121], s[0:1], v[114:115]
	v_add_f64 v[110:111], v[18:19], -v[16:17]
	v_add_f64 v[118:119], v[20:21], -v[22:23]
	v_fmac_f64_e32 v[100:101], s[20:21], v[114:115]
	v_add_f64 v[114:115], v[10:11], v[12:13]
	v_add_f64 v[110:111], v[110:111], v[118:119]
	v_fma_f64 v[118:119], -0.5, v[114:115], v[102:103]
	v_add_f64 v[16:17], v[16:17], -v[22:23]
	v_fma_f64 v[146:147], v[108:109], v[34:35], -v[146:147]
	v_add_f64 v[108:109], v[148:149], v[22:23]
	v_fma_f64 v[114:115], s[18:19], v[16:17], v[118:119]
	v_add_f64 v[18:19], v[18:19], -v[20:21]
	v_add_f64 v[20:21], v[8:9], -v[10:11]
	;; [unrolled: 1-line block ×3, first 2 shown]
	v_fmac_f64_e32 v[118:119], s[6:7], v[16:17]
	v_fmac_f64_e32 v[114:115], s[20:21], v[18:19]
	v_add_f64 v[20:21], v[20:21], v[22:23]
	v_fmac_f64_e32 v[118:119], s[0:1], v[18:19]
	v_fmac_f64_e32 v[114:115], s[16:17], v[20:21]
	v_fmac_f64_e32 v[118:119], s[16:17], v[20:21]
	v_add_f64 v[20:21], v[8:9], v[14:15]
	v_mul_f64 v[138:139], v[124:125], v[48:49]
	v_fmac_f64_e32 v[120:121], s[16:17], v[110:111]
	v_fmac_f64_e32 v[100:101], s[16:17], v[110:111]
	v_add_f64 v[110:111], v[102:103], v[8:9]
	v_fmac_f64_e32 v[102:103], -0.5, v[20:21]
	v_mul_f64 v[2:3], v[122:123], v[48:49]
	v_fma_f64 v[156:157], v[122:123], v[46:47], -v[138:139]
	v_add_f64 v[110:111], v[110:111], v[10:11]
	v_fma_f64 v[122:123], s[6:7], v[18:19], v[102:103]
	v_add_f64 v[8:9], v[10:11], -v[8:9]
	v_add_f64 v[10:11], v[12:13], -v[14:15]
	v_fmac_f64_e32 v[102:103], s[18:19], v[18:19]
	v_fmac_f64_e32 v[122:123], s[20:21], v[16:17]
	v_add_f64 v[8:9], v[8:9], v[10:11]
	v_fmac_f64_e32 v[102:103], s[0:1], v[16:17]
	v_fmac_f64_e32 v[122:123], s[16:17], v[8:9]
	;; [unrolled: 1-line block ×3, first 2 shown]
	v_add_f64 v[8:9], v[104:105], v[62:63]
	v_add_f64 v[8:9], v[8:9], v[142:143]
	v_add_f64 v[8:9], v[8:9], v[144:145]
	v_fmac_f64_e32 v[2:3], v[124:125], v[46:47]
	v_add_f64 v[124:125], v[8:9], v[130:131]
	v_add_f64 v[8:9], v[142:143], v[144:145]
	v_fmac_f64_e32 v[28:29], v[136:137], v[84:85]
	v_mul_f64 v[0:1], v[126:127], v[40:41]
	v_add_f64 v[110:111], v[110:111], v[12:13]
	v_fma_f64 v[132:133], -0.5, v[8:9], v[104:105]
	v_add_f64 v[8:9], v[24:25], -v[30:31]
	v_mul_f64 v[136:137], v[128:129], v[40:41]
	v_fmac_f64_e32 v[0:1], v[128:129], v[38:39]
	v_add_f64 v[110:111], v[110:111], v[14:15]
	v_fma_f64 v[128:129], s[6:7], v[8:9], v[132:133]
	v_add_f64 v[10:11], v[26:27], -v[28:29]
	v_add_f64 v[12:13], v[62:63], -v[142:143]
	;; [unrolled: 1-line block ×3, first 2 shown]
	v_fmac_f64_e32 v[132:133], s[18:19], v[8:9]
	v_fmac_f64_e32 v[128:129], s[0:1], v[10:11]
	v_add_f64 v[12:13], v[12:13], v[14:15]
	v_fmac_f64_e32 v[132:133], s[20:21], v[10:11]
	v_fmac_f64_e32 v[128:129], s[16:17], v[12:13]
	;; [unrolled: 1-line block ×3, first 2 shown]
	v_add_f64 v[12:13], v[62:63], v[130:131]
	v_fmac_f64_e32 v[104:105], -0.5, v[12:13]
	v_fma_f64 v[154:155], v[126:127], v[38:39], -v[136:137]
	v_fma_f64 v[136:137], s[18:19], v[10:11], v[104:105]
	v_fmac_f64_e32 v[104:105], s[6:7], v[10:11]
	v_fmac_f64_e32 v[136:137], s[0:1], v[8:9]
	v_fmac_f64_e32 v[104:105], s[20:21], v[8:9]
	v_add_f64 v[8:9], v[106:107], v[24:25]
	v_add_f64 v[8:9], v[8:9], v[26:27]
	v_add_f64 v[8:9], v[8:9], v[28:29]
	v_add_f64 v[12:13], v[142:143], -v[62:63]
	v_add_f64 v[14:15], v[144:145], -v[130:131]
	v_add_f64 v[126:127], v[8:9], v[30:31]
	v_add_f64 v[8:9], v[26:27], v[28:29]
	v_add_f64 v[12:13], v[12:13], v[14:15]
	v_fma_f64 v[134:135], -0.5, v[8:9], v[106:107]
	v_add_f64 v[8:9], v[62:63], -v[130:131]
	v_fmac_f64_e32 v[136:137], s[16:17], v[12:13]
	v_fmac_f64_e32 v[104:105], s[16:17], v[12:13]
	v_fma_f64 v[130:131], s[18:19], v[8:9], v[134:135]
	v_add_f64 v[10:11], v[142:143], -v[144:145]
	v_add_f64 v[12:13], v[24:25], -v[26:27]
	v_add_f64 v[14:15], v[30:31], -v[28:29]
	v_fmac_f64_e32 v[134:135], s[6:7], v[8:9]
	v_fmac_f64_e32 v[130:131], s[20:21], v[10:11]
	v_add_f64 v[12:13], v[12:13], v[14:15]
	v_fmac_f64_e32 v[134:135], s[0:1], v[10:11]
	v_fmac_f64_e32 v[130:131], s[16:17], v[12:13]
	v_fmac_f64_e32 v[134:135], s[16:17], v[12:13]
	v_add_f64 v[12:13], v[24:25], v[30:31]
	v_fmac_f64_e32 v[106:107], -0.5, v[12:13]
	v_fma_f64 v[138:139], s[6:7], v[10:11], v[106:107]
	v_fmac_f64_e32 v[106:107], s[18:19], v[10:11]
	v_fmac_f64_e32 v[138:139], s[20:21], v[8:9]
	v_fmac_f64_e32 v[106:107], s[0:1], v[8:9]
	v_add_f64 v[8:9], v[96:97], v[154:155]
	v_add_f64 v[8:9], v[8:9], v[156:157]
	v_add_f64 v[8:9], v[8:9], v[158:159]
	v_add_f64 v[12:13], v[26:27], -v[24:25]
	v_add_f64 v[14:15], v[28:29], -v[30:31]
	v_add_f64 v[140:141], v[8:9], v[146:147]
	v_add_f64 v[8:9], v[156:157], v[158:159]
	v_add_f64 v[12:13], v[12:13], v[14:15]
	v_fma_f64 v[148:149], -0.5, v[8:9], v[96:97]
	v_add_f64 v[8:9], v[0:1], -v[6:7]
	v_fmac_f64_e32 v[138:139], s[16:17], v[12:13]
	v_fmac_f64_e32 v[106:107], s[16:17], v[12:13]
	v_fma_f64 v[144:145], s[6:7], v[8:9], v[148:149]
	v_add_f64 v[10:11], v[2:3], -v[4:5]
	v_add_f64 v[12:13], v[154:155], -v[156:157]
	v_add_f64 v[14:15], v[146:147], -v[158:159]
	v_fmac_f64_e32 v[148:149], s[18:19], v[8:9]
	v_fmac_f64_e32 v[144:145], s[0:1], v[10:11]
	v_add_f64 v[12:13], v[12:13], v[14:15]
	v_fmac_f64_e32 v[148:149], s[20:21], v[10:11]
	v_fmac_f64_e32 v[144:145], s[16:17], v[12:13]
	v_fmac_f64_e32 v[148:149], s[16:17], v[12:13]
	v_add_f64 v[12:13], v[154:155], v[146:147]
	v_fmac_f64_e32 v[96:97], -0.5, v[12:13]
	;; [unrolled: 28-line block ×3, first 2 shown]
	v_fma_f64 v[154:155], s[6:7], v[10:11], v[98:99]
	v_add_f64 v[0:1], v[2:3], -v[0:1]
	v_add_f64 v[2:3], v[4:5], -v[6:7]
	v_fmac_f64_e32 v[98:99], s[18:19], v[10:11]
	v_fmac_f64_e32 v[154:155], s[20:21], v[8:9]
	v_add_f64 v[0:1], v[0:1], v[2:3]
	v_fmac_f64_e32 v[98:99], s[0:1], v[8:9]
	v_accvgpr_write_b32 a10, v38
	v_accvgpr_write_b32 a18, v46
	;; [unrolled: 1-line block ×4, first 2 shown]
	v_fmac_f64_e32 v[154:155], s[16:17], v[0:1]
	v_fmac_f64_e32 v[98:99], s[16:17], v[0:1]
	v_accvgpr_read_b32 v1, a5
	v_accvgpr_read_b32 v0, a0
	v_accvgpr_write_b32 a11, v39
	v_accvgpr_write_b32 a12, v40
	;; [unrolled: 1-line block ×12, first 2 shown]
	v_lshl_add_u32 v62, v32, 4, v1
	v_add_u32_e32 v63, v0, v1
	ds_write_b128 v62, v[108:111]
	ds_write_b128 v62, v[112:115] offset:2992
	ds_write_b128 v62, v[120:123] offset:5984
	;; [unrolled: 1-line block ×9, first 2 shown]
	s_and_saveexec_b64 s[0:1], s[2:3]
	s_cbranch_execz .LBB0_11
; %bb.10:
	ds_write_b128 v62, v[140:143] offset:2720
	ds_write_b128 v62, v[144:147] offset:5712
	;; [unrolled: 1-line block ×5, first 2 shown]
.LBB0_11:
	s_or_b64 exec, exec, s[0:1]
	s_waitcnt lgkmcnt(0)
	s_barrier
	s_and_saveexec_b64 s[0:1], s[4:5]
	s_cbranch_execz .LBB0_13
; %bb.12:
	v_accvgpr_read_b32 v0, a0
	v_mov_b32_e32 v1, 0
	v_lshl_add_u64 v[160:161], s[12:13], 0, v[0:1]
	v_add_co_u32_e32 v4, vcc, 0x3000, v160
	ds_read_b128 v[0:3], v62
	ds_read_b128 v[156:159], v62 offset:14080
	v_addc_co_u32_e32 v5, vcc, 0, v161, vcc
	global_load_dwordx4 v[4:7], v[4:5], off offset:2672
	s_mov_b64 s[6:7], 0x3a70
	v_lshl_add_u64 v[12:13], v[160:161], 0, s[6:7]
	s_movk_i32 s6, 0x4000
	s_waitcnt vmcnt(0) lgkmcnt(1)
	v_mul_f64 v[8:9], v[2:3], v[6:7]
	v_mul_f64 v[10:11], v[0:1], v[6:7]
	v_fma_f64 v[8:9], v[0:1], v[4:5], -v[8:9]
	v_fmac_f64_e32 v[10:11], v[2:3], v[4:5]
	global_load_dwordx4 v[4:7], v[12:13], off offset:880
	ds_read_b128 v[0:3], v62 offset:880
	ds_write_b128 v62, v[8:11]
	s_waitcnt vmcnt(0) lgkmcnt(1)
	v_mul_f64 v[8:9], v[2:3], v[6:7]
	v_mul_f64 v[10:11], v[0:1], v[6:7]
	v_fma_f64 v[8:9], v[0:1], v[4:5], -v[8:9]
	v_fmac_f64_e32 v[10:11], v[2:3], v[4:5]
	global_load_dwordx4 v[4:7], v[12:13], off offset:1760
	ds_read_b128 v[0:3], v62 offset:1760
	ds_write_b128 v62, v[8:11] offset:880
	s_waitcnt vmcnt(0) lgkmcnt(1)
	v_mul_f64 v[8:9], v[2:3], v[6:7]
	v_mul_f64 v[10:11], v[0:1], v[6:7]
	v_fma_f64 v[8:9], v[0:1], v[4:5], -v[8:9]
	v_fmac_f64_e32 v[10:11], v[2:3], v[4:5]
	global_load_dwordx4 v[4:7], v[12:13], off offset:2640
	ds_read_b128 v[0:3], v62 offset:2640
	ds_write_b128 v62, v[8:11] offset:1760
	s_waitcnt vmcnt(0) lgkmcnt(1)
	v_mul_f64 v[8:9], v[2:3], v[6:7]
	v_mul_f64 v[10:11], v[0:1], v[6:7]
	v_fma_f64 v[8:9], v[0:1], v[4:5], -v[8:9]
	v_fmac_f64_e32 v[10:11], v[2:3], v[4:5]
	global_load_dwordx4 v[4:7], v[12:13], off offset:3520
	ds_read_b128 v[0:3], v62 offset:3520
	v_add_co_u32_e32 v12, vcc, s6, v160
	ds_write_b128 v62, v[8:11] offset:2640
	s_nop 0
	v_addc_co_u32_e32 v13, vcc, 0, v161, vcc
	s_movk_i32 s6, 0x5000
	s_waitcnt vmcnt(0) lgkmcnt(1)
	v_mul_f64 v[8:9], v[2:3], v[6:7]
	v_mul_f64 v[10:11], v[0:1], v[6:7]
	v_fma_f64 v[8:9], v[0:1], v[4:5], -v[8:9]
	v_fmac_f64_e32 v[10:11], v[2:3], v[4:5]
	global_load_dwordx4 v[4:7], v[12:13], off offset:2976
	ds_read_b128 v[0:3], v62 offset:4400
	ds_write_b128 v62, v[8:11] offset:3520
	s_waitcnt vmcnt(0) lgkmcnt(1)
	v_mul_f64 v[8:9], v[2:3], v[6:7]
	v_mul_f64 v[10:11], v[0:1], v[6:7]
	v_fma_f64 v[8:9], v[0:1], v[4:5], -v[8:9]
	v_fmac_f64_e32 v[10:11], v[2:3], v[4:5]
	global_load_dwordx4 v[4:7], v[12:13], off offset:3856
	ds_read_b128 v[0:3], v62 offset:5280
	v_add_co_u32_e32 v12, vcc, s6, v160
	ds_write_b128 v62, v[8:11] offset:4400
	s_nop 0
	v_addc_co_u32_e32 v13, vcc, 0, v161, vcc
	s_movk_i32 s6, 0x6000
	s_waitcnt vmcnt(0) lgkmcnt(1)
	v_mul_f64 v[8:9], v[2:3], v[6:7]
	v_mul_f64 v[10:11], v[0:1], v[6:7]
	v_fma_f64 v[8:9], v[0:1], v[4:5], -v[8:9]
	v_fmac_f64_e32 v[10:11], v[2:3], v[4:5]
	global_load_dwordx4 v[4:7], v[12:13], off offset:640
	ds_read_b128 v[0:3], v62 offset:6160
	ds_write_b128 v62, v[8:11] offset:5280
	s_waitcnt vmcnt(0) lgkmcnt(1)
	v_mul_f64 v[8:9], v[2:3], v[6:7]
	v_mul_f64 v[10:11], v[0:1], v[6:7]
	v_fma_f64 v[8:9], v[0:1], v[4:5], -v[8:9]
	v_fmac_f64_e32 v[10:11], v[2:3], v[4:5]
	global_load_dwordx4 v[4:7], v[12:13], off offset:1520
	ds_read_b128 v[0:3], v62 offset:7040
	ds_write_b128 v62, v[8:11] offset:6160
	;; [unrolled: 8-line block ×3, first 2 shown]
	s_waitcnt vmcnt(0) lgkmcnt(1)
	v_mul_f64 v[8:9], v[2:3], v[6:7]
	v_mul_f64 v[10:11], v[0:1], v[6:7]
	v_fma_f64 v[8:9], v[0:1], v[4:5], -v[8:9]
	v_fmac_f64_e32 v[10:11], v[2:3], v[4:5]
	global_load_dwordx4 v[4:7], v[12:13], off offset:3280
	ds_read_b128 v[0:3], v62 offset:8800
	v_add_co_u32_e32 v12, vcc, s6, v160
	ds_write_b128 v62, v[8:11] offset:7920
	s_nop 0
	v_addc_co_u32_e32 v13, vcc, 0, v161, vcc
	s_movk_i32 s6, 0x7000
	s_waitcnt vmcnt(0) lgkmcnt(1)
	v_mul_f64 v[8:9], v[2:3], v[6:7]
	v_mul_f64 v[10:11], v[0:1], v[6:7]
	v_fma_f64 v[8:9], v[0:1], v[4:5], -v[8:9]
	v_fmac_f64_e32 v[10:11], v[2:3], v[4:5]
	global_load_dwordx4 v[4:7], v[12:13], off offset:64
	ds_read_b128 v[0:3], v62 offset:9680
	ds_write_b128 v62, v[8:11] offset:8800
	s_waitcnt vmcnt(0) lgkmcnt(1)
	v_mul_f64 v[8:9], v[2:3], v[6:7]
	v_mul_f64 v[10:11], v[0:1], v[6:7]
	v_fma_f64 v[8:9], v[0:1], v[4:5], -v[8:9]
	v_fmac_f64_e32 v[10:11], v[2:3], v[4:5]
	global_load_dwordx4 v[4:7], v[12:13], off offset:944
	ds_read_b128 v[0:3], v62 offset:10560
	ds_write_b128 v62, v[8:11] offset:9680
	;; [unrolled: 8-line block ×5, first 2 shown]
	s_waitcnt vmcnt(0) lgkmcnt(1)
	v_mul_f64 v[8:9], v[2:3], v[6:7]
	v_fma_f64 v[8:9], v[0:1], v[4:5], -v[8:9]
	v_mul_f64 v[10:11], v[0:1], v[6:7]
	v_add_co_u32_e32 v0, vcc, s6, v160
	v_fmac_f64_e32 v[10:11], v[2:3], v[4:5]
	s_nop 0
	v_addc_co_u32_e32 v1, vcc, 0, v161, vcc
	global_load_dwordx4 v[160:163], v[0:1], off offset:368
	ds_write_b128 v62, v[8:11] offset:13200
	s_waitcnt vmcnt(0)
	v_mul_f64 v[0:1], v[158:159], v[162:163]
	v_mul_f64 v[2:3], v[156:157], v[162:163]
	v_fma_f64 v[0:1], v[156:157], v[160:161], -v[0:1]
	v_fmac_f64_e32 v[2:3], v[158:159], v[160:161]
	ds_write_b128 v62, v[0:3] offset:14080
.LBB0_13:
	s_or_b64 exec, exec, s[0:1]
	s_waitcnt lgkmcnt(0)
	s_barrier
	s_and_saveexec_b64 s[0:1], s[4:5]
	s_cbranch_execz .LBB0_15
; %bb.14:
	ds_read_b128 v[108:111], v62
	ds_read_b128 v[112:115], v62 offset:880
	ds_read_b128 v[120:123], v62 offset:1760
	;; [unrolled: 1-line block ×16, first 2 shown]
.LBB0_15:
	s_or_b64 exec, exec, s[0:1]
	s_mov_b32 s18, 0x7c9e640b
	s_waitcnt lgkmcnt(0)
	v_add_f64 v[218:219], v[114:115], -v[240:241]
	s_mov_b32 s0, 0x2b2883cd
	s_mov_b32 s19, 0xbfeca52d
	v_add_f64 v[214:215], v[112:113], v[238:239]
	v_add_f64 v[216:217], v[114:115], v[240:241]
	s_mov_b32 s1, 0x3fdc86fa
	v_mul_f64 v[20:21], v[218:219], s[18:19]
	s_mov_b32 s22, 0xeb564b22
	v_add_f64 v[220:221], v[112:113], -v[238:239]
	v_mul_f64 v[42:43], v[216:217], s[0:1]
	v_fma_f64 v[0:1], v[214:215], s[0:1], -v[20:21]
	s_mov_b32 s6, 0x3259b75e
	s_mov_b32 s23, 0xbfefdd0d
	v_add_f64 v[4:5], v[108:109], v[0:1]
	v_fma_f64 v[0:1], s[18:19], v[220:221], v[42:43]
	s_mov_b32 s7, 0x3fb79ee6
	v_mul_f64 v[46:47], v[218:219], s[22:23]
	v_add_f64 v[6:7], v[110:111], v[0:1]
	v_mul_f64 v[64:65], v[216:217], s[6:7]
	v_fma_f64 v[0:1], v[214:215], s[6:7], -v[46:47]
	s_mov_b32 s24, 0x923c349f
	v_add_f64 v[8:9], v[108:109], v[0:1]
	v_fma_f64 v[0:1], s[22:23], v[220:221], v[64:65]
	s_mov_b32 s25, 0xbfeec746
	v_add_f64 v[10:11], v[110:111], v[0:1]
	s_mov_b32 s16, 0xc61f0d01
	v_mul_f64 v[0:1], v[218:219], s[24:25]
	s_mov_b32 s17, 0xbfd183b1
	v_accvgpr_write_b32 a75, v1
	v_mul_f64 v[2:3], v[216:217], s[16:17]
	v_accvgpr_write_b32 a74, v0
	v_fma_f64 v[0:1], v[214:215], s[16:17], -v[0:1]
	s_mov_b32 s28, 0x6c9a05f6
	v_add_f64 v[12:13], v[108:109], v[0:1]
	v_fma_f64 v[0:1], s[24:25], v[220:221], v[2:3]
	s_mov_b32 s20, 0x6ed5f1bb
	s_mov_b32 s29, 0xbfe9895b
	v_add_f64 v[14:15], v[110:111], v[0:1]
	s_mov_b32 s21, 0xbfe348c8
	v_mul_f64 v[0:1], v[218:219], s[28:29]
	v_mul_f64 v[16:17], v[216:217], s[20:21]
	v_accvgpr_write_b32 a103, v1
	v_add_f64 v[226:227], v[122:123], -v[244:245]
	v_accvgpr_write_b32 a83, v3
	v_accvgpr_write_b32 a102, v0
	v_fma_f64 v[0:1], v[214:215], s[20:21], -v[0:1]
	v_accvgpr_write_b32 a111, v17
	v_add_f64 v[222:223], v[120:121], v[242:243]
	v_add_f64 v[224:225], v[122:123], v[244:245]
	v_mul_f64 v[44:45], v[226:227], s[28:29]
	v_accvgpr_write_b32 a82, v2
	v_add_f64 v[2:3], v[108:109], v[0:1]
	v_accvgpr_write_b32 a110, v16
	v_fma_f64 v[0:1], s[28:29], v[220:221], v[16:17]
	v_add_f64 v[230:231], v[120:121], -v[242:243]
	v_mul_f64 v[48:49], v[224:225], s[20:21]
	v_fma_f64 v[16:17], v[222:223], s[20:21], -v[44:45]
	s_mov_b32 s34, 0xacd6c6b4
	v_add_f64 v[4:5], v[16:17], v[4:5]
	v_fma_f64 v[16:17], s[28:29], v[230:231], v[48:49]
	s_mov_b32 s35, 0xbfc7851a
	v_add_f64 v[6:7], v[16:17], v[6:7]
	s_mov_b32 s26, 0x7faef3
	v_mul_f64 v[16:17], v[226:227], s[34:35]
	s_mov_b32 s27, 0xbfef7484
	v_accvgpr_write_b32 a71, v17
	v_mul_f64 v[18:19], v[224:225], s[26:27]
	v_accvgpr_write_b32 a70, v16
	v_fma_f64 v[16:17], v[222:223], s[26:27], -v[16:17]
	v_add_f64 v[8:9], v[16:17], v[8:9]
	v_fma_f64 v[16:17], s[34:35], v[230:231], v[18:19]
	v_add_f64 v[10:11], v[16:17], v[10:11]
	s_mov_b32 s30, 0x910ea3b9
	v_mul_f64 v[16:17], v[226:227], s[44:45]
	v_accvgpr_write_b32 a81, v19
	s_mov_b32 s31, 0xbfeb34fa
	v_accvgpr_write_b32 a107, v17
	v_accvgpr_write_b32 a80, v18
	v_mul_f64 v[18:19], v[224:225], s[30:31]
	v_accvgpr_write_b32 a106, v16
	v_fma_f64 v[16:17], v[222:223], s[30:31], -v[16:17]
	v_add_f64 v[234:235], v[102:103], -v[150:151]
	s_mov_b32 s56, s34
	v_add_f64 v[12:13], v[16:17], v[12:13]
	v_fma_f64 v[16:17], s[44:45], v[230:231], v[18:19]
	v_add_f64 v[228:229], v[100:101], v[148:149]
	v_add_f64 v[232:233], v[102:103], v[150:151]
	v_mov_b64_e32 v[32:33], v[238:239]
	v_mul_f64 v[58:59], v[234:235], s[56:57]
	v_add_f64 v[14:15], v[16:17], v[14:15]
	v_mov_b64_e32 v[34:35], v[240:241]
	v_add_f64 v[238:239], v[100:101], -v[148:149]
	v_mul_f64 v[66:67], v[232:233], s[26:27]
	v_fma_f64 v[16:17], v[228:229], s[26:27], -v[58:59]
	s_mov_b32 s49, 0x3feec746
	s_mov_b32 s48, s24
	v_add_f64 v[4:5], v[16:17], v[4:5]
	v_fma_f64 v[16:17], s[56:57], v[238:239], v[66:67]
	v_add_f64 v[6:7], v[16:17], v[6:7]
	v_mul_f64 v[16:17], v[234:235], s[48:49]
	v_accvgpr_write_b32 a115, v19
	v_accvgpr_write_b32 a79, v17
	;; [unrolled: 1-line block ×3, first 2 shown]
	v_mul_f64 v[18:19], v[232:233], s[16:17]
	v_accvgpr_write_b32 a78, v16
	v_fma_f64 v[16:17], v[228:229], s[16:17], -v[16:17]
	s_mov_b32 s52, 0x2a9d6da3
	v_add_f64 v[8:9], v[16:17], v[8:9]
	v_fma_f64 v[16:17], s[48:49], v[238:239], v[18:19]
	s_mov_b32 s53, 0x3fe58eea
	v_add_f64 v[10:11], v[16:17], v[10:11]
	s_mov_b32 s36, 0x75d4884
	v_mul_f64 v[16:17], v[234:235], s[52:53]
	v_accvgpr_write_b32 a101, v19
	s_mov_b32 s37, 0x3fe7a5f6
	v_accvgpr_write_b32 a123, v17
	v_accvgpr_write_b32 a100, v18
	v_mul_f64 v[18:19], v[232:233], s[36:37]
	v_accvgpr_write_b32 a122, v16
	v_fma_f64 v[16:17], v[228:229], s[36:37], -v[16:17]
	v_mov_b64_e32 v[38:39], v[242:243]
	v_add_f64 v[12:13], v[16:17], v[12:13]
	v_fma_f64 v[16:17], s[52:53], v[238:239], v[18:19]
	v_mov_b64_e32 v[40:41], v[244:245]
	v_add_f64 v[244:245], v[118:119], -v[98:99]
	v_add_f64 v[14:15], v[16:17], v[14:15]
	v_mul_f64 v[16:17], v[244:245], s[48:49]
	v_accvgpr_write_b32 a129, v19
	v_add_f64 v[236:237], v[116:117], v[96:97]
	v_add_f64 v[240:241], v[118:119], v[98:99]
	v_accvgpr_write_b32 a73, v17
	v_accvgpr_write_b32 a128, v18
	s_mov_b32 s40, 0x5d8e7cdc
	v_add_f64 v[250:251], v[116:117], -v[96:97]
	v_mul_f64 v[18:19], v[240:241], s[16:17]
	v_accvgpr_write_b32 a72, v16
	v_fma_f64 v[16:17], v[236:237], s[16:17], -v[16:17]
	s_mov_b32 s41, 0xbfd71e95
	v_add_f64 v[4:5], v[16:17], v[4:5]
	v_fma_f64 v[16:17], s[48:49], v[250:251], v[18:19]
	s_mov_b32 s51, 0x3fd71e95
	s_mov_b32 s50, s40
	;; [unrolled: 1-line block ×3, first 2 shown]
	v_add_f64 v[16:17], v[16:17], v[6:7]
	v_mul_f64 v[6:7], v[244:245], s[50:51]
	s_mov_b32 s39, 0x3fedd6d0
	v_accvgpr_write_b32 a77, v19
	v_accvgpr_write_b32 a105, v7
	;; [unrolled: 1-line block ×3, first 2 shown]
	v_mul_f64 v[18:19], v[240:241], s[38:39]
	v_accvgpr_write_b32 a104, v6
	v_fma_f64 v[6:7], v[236:237], s[38:39], -v[6:7]
	v_add_f64 v[8:9], v[6:7], v[8:9]
	v_fma_f64 v[6:7], s[50:51], v[250:251], v[18:19]
	v_accvgpr_write_b32 a121, v19
	v_add_f64 v[10:11], v[6:7], v[10:11]
	v_mul_f64 v[6:7], v[244:245], s[18:19]
	v_accvgpr_write_b32 a120, v18
	v_mul_f64 v[22:23], v[240:241], s[0:1]
	v_accvgpr_write_b32 a135, v7
	v_fma_f64 v[18:19], v[236:237], s[0:1], -v[6:7]
	v_add_f64 v[252:253], v[126:127], -v[154:155]
	v_accvgpr_write_b32 a134, v6
	v_add_f64 v[12:13], v[18:19], v[12:13]
	v_accvgpr_write_b32 a149, v23
	v_fma_f64 v[18:19], s[18:19], v[250:251], v[22:23]
	v_add_f64 v[242:243], v[124:125], v[152:153]
	v_add_f64 v[246:247], v[126:127], v[154:155]
	v_mul_f64 v[6:7], v[252:253], s[52:53]
	v_accvgpr_write_b32 a148, v22
	v_add_f64 v[14:15], v[18:19], v[14:15]
	v_add_f64 v[172:173], v[124:125], -v[152:153]
	v_mul_f64 v[22:23], v[246:247], s[36:37]
	v_fma_f64 v[18:19], v[242:243], s[36:37], -v[6:7]
	v_add_f64 v[4:5], v[18:19], v[4:5]
	v_fma_f64 v[18:19], s[52:53], v[172:173], v[22:23]
	v_add_f64 v[16:17], v[18:19], v[16:17]
	v_mul_f64 v[18:19], v[252:253], s[18:19]
	v_accvgpr_write_b32 a89, v23
	v_accvgpr_write_b32 a117, v19
	;; [unrolled: 1-line block ×3, first 2 shown]
	v_mul_f64 v[22:23], v[246:247], s[0:1]
	v_accvgpr_write_b32 a116, v18
	v_fma_f64 v[18:19], v[242:243], s[0:1], -v[18:19]
	v_add_f64 v[8:9], v[18:19], v[8:9]
	v_fma_f64 v[18:19], s[18:19], v[172:173], v[22:23]
	v_add_f64 v[10:11], v[18:19], v[10:11]
	v_mul_f64 v[18:19], v[252:253], s[34:35]
	v_accvgpr_write_b32 a151, v19
	v_mul_f64 v[180:181], v[246:247], s[26:27]
	v_accvgpr_write_b32 a150, v18
	v_fma_f64 v[18:19], v[242:243], s[26:27], -v[18:19]
	v_add_f64 v[12:13], v[18:19], v[12:13]
	v_fma_f64 v[18:19], s[34:35], v[172:173], v[180:181]
	v_add_f64 v[174:175], v[130:131], -v[146:147]
	v_add_f64 v[14:15], v[18:19], v[14:15]
	v_mul_f64 v[18:19], v[174:175], s[40:41]
	v_accvgpr_write_b32 a133, v23
	v_add_f64 v[248:249], v[128:129], v[144:145]
	v_add_f64 v[254:255], v[130:131], v[146:147]
	v_accvgpr_write_b32 a99, v19
	v_accvgpr_write_b32 a132, v22
	v_add_f64 v[212:213], v[128:129], -v[144:145]
	v_mul_f64 v[22:23], v[254:255], s[38:39]
	v_accvgpr_write_b32 a98, v18
	v_fma_f64 v[18:19], v[248:249], s[38:39], -v[18:19]
	s_mov_b32 s46, s44
	v_add_f64 v[4:5], v[18:19], v[4:5]
	v_fma_f64 v[18:19], s[40:41], v[212:213], v[22:23]
	v_add_f64 v[16:17], v[18:19], v[16:17]
	v_mul_f64 v[18:19], v[174:175], s[46:47]
	v_accvgpr_write_b32 a109, v23
	v_accvgpr_write_b32 a127, v19
	s_mov_b32 s63, 0x3fefdd0d
	s_mov_b32 s62, s22
	v_accvgpr_write_b32 a108, v22
	v_mul_f64 v[22:23], v[254:255], s[30:31]
	v_accvgpr_write_b32 a126, v18
	v_fma_f64 v[18:19], v[248:249], s[30:31], -v[18:19]
	v_add_f64 v[8:9], v[18:19], v[8:9]
	v_accvgpr_write_b32 a147, v23
	v_fma_f64 v[18:19], s[46:47], v[212:213], v[22:23]
	v_mul_f64 v[182:183], v[174:175], s[62:63]
	v_add_f64 v[208:209], v[138:139], -v[142:143]
	v_accvgpr_write_b32 a146, v22
	v_add_f64 v[18:19], v[18:19], v[10:11]
	v_mul_f64 v[204:205], v[254:255], s[6:7]
	v_fma_f64 v[10:11], v[248:249], s[6:7], -v[182:183]
	v_mul_f64 v[22:23], v[208:209], s[22:23]
	v_add_f64 v[12:13], v[10:11], v[12:13]
	v_fma_f64 v[10:11], s[62:63], v[212:213], v[204:205]
	v_add_f64 v[210:211], v[136:137], v[140:141]
	v_add_f64 v[176:177], v[138:139], v[142:143]
	v_accvgpr_write_b32 a113, v23
	v_add_f64 v[14:15], v[10:11], v[14:15]
	v_add_f64 v[10:11], v[136:137], -v[140:141]
	v_mul_f64 v[24:25], v[176:177], s[6:7]
	v_accvgpr_write_b32 a112, v22
	v_fma_f64 v[22:23], v[210:211], s[6:7], -v[22:23]
	v_add_f64 v[4:5], v[22:23], v[4:5]
	v_fma_f64 v[22:23], s[22:23], v[10:11], v[24:25]
	s_mov_b32 s61, 0x3fe9895b
	s_mov_b32 s60, s28
	v_add_f64 v[16:17], v[22:23], v[16:17]
	v_mul_f64 v[22:23], v[208:209], s[60:61]
	v_accvgpr_write_b32 a137, v23
	v_accvgpr_write_b32 a119, v25
	v_mul_f64 v[206:207], v[176:177], s[20:21]
	v_accvgpr_write_b32 a136, v22
	v_fma_f64 v[22:23], v[210:211], s[20:21], -v[22:23]
	v_accvgpr_write_b32 a118, v24
	v_add_f64 v[24:25], v[22:23], v[8:9]
	v_fma_f64 v[8:9], s[60:61], v[10:11], v[206:207]
	v_mul_f64 v[184:185], v[208:209], s[40:41]
	v_add_f64 v[18:19], v[8:9], v[18:19]
	v_fma_f64 v[8:9], v[210:211], s[38:39], -v[184:185]
	v_mul_f64 v[186:187], v[176:177], s[38:39]
	v_add_f64 v[26:27], v[8:9], v[12:13]
	v_add_f64 v[12:13], v[106:107], -v[134:135]
	v_fma_f64 v[8:9], s[40:41], v[10:11], v[186:187]
	v_mul_f64 v[22:23], v[12:13], s[46:47]
	v_add_f64 v[28:29], v[8:9], v[14:15]
	v_add_f64 v[178:179], v[104:105], v[132:133]
	;; [unrolled: 1-line block ×3, first 2 shown]
	v_accvgpr_write_b32 a125, v23
	v_add_f64 v[14:15], v[104:105], -v[132:133]
	v_mul_f64 v[30:31], v[8:9], s[30:31]
	v_accvgpr_write_b32 a124, v22
	v_fma_f64 v[22:23], v[178:179], s[30:31], -v[22:23]
	v_add_f64 v[156:157], v[22:23], v[4:5]
	v_fma_f64 v[4:5], s[46:47], v[14:15], v[30:31]
	v_mul_f64 v[22:23], v[12:13], s[52:53]
	v_add_f64 v[158:159], v[4:5], v[16:17]
	v_mul_f64 v[196:197], v[8:9], s[36:37]
	v_fma_f64 v[4:5], v[178:179], s[36:37], -v[22:23]
	v_add_f64 v[164:165], v[4:5], v[24:25]
	v_fma_f64 v[4:5], s[52:53], v[14:15], v[196:197]
	v_mul_f64 v[198:199], v[12:13], s[28:29]
	v_add_f64 v[166:167], v[4:5], v[18:19]
	v_mul_f64 v[192:193], v[8:9], s[20:21]
	v_fma_f64 v[4:5], v[178:179], s[20:21], -v[198:199]
	v_add_f64 v[160:161], v[4:5], v[26:27]
	v_fma_f64 v[4:5], s[28:29], v[14:15], v[192:193]
	v_mul_f64 v[190:191], v[226:227], s[48:49]
	v_add_f64 v[162:163], v[4:5], v[28:29]
	v_fma_f64 v[4:5], v[222:223], s[16:17], -v[190:191]
	v_add_f64 v[4:5], v[4:5], v[2:3]
	v_mul_f64 v[2:3], v[224:225], s[16:17]
	v_add_f64 v[0:1], v[110:111], v[0:1]
	v_fma_f64 v[16:17], s[48:49], v[230:231], v[2:3]
	v_mul_f64 v[188:189], v[234:235], s[40:41]
	v_add_f64 v[0:1], v[16:17], v[0:1]
	v_fma_f64 v[16:17], v[228:229], s[38:39], -v[188:189]
	v_add_f64 v[4:5], v[16:17], v[4:5]
	v_mul_f64 v[16:17], v[232:233], s[38:39]
	v_fma_f64 v[18:19], s[40:41], v[238:239], v[16:17]
	v_mul_f64 v[202:203], v[244:245], s[46:47]
	v_add_f64 v[0:1], v[18:19], v[0:1]
	v_fma_f64 v[18:19], v[236:237], s[30:31], -v[202:203]
	v_add_f64 v[4:5], v[18:19], v[4:5]
	v_mul_f64 v[18:19], v[240:241], s[30:31]
	v_fma_f64 v[24:25], s[46:47], v[250:251], v[18:19]
	v_add_f64 v[24:25], v[24:25], v[0:1]
	v_mul_f64 v[0:1], v[252:253], s[62:63]
	v_fma_f64 v[26:27], v[242:243], s[6:7], -v[0:1]
	v_add_f64 v[26:27], v[26:27], v[4:5]
	v_mul_f64 v[4:5], v[246:247], s[6:7]
	s_mov_b32 s55, 0xbfe58eea
	s_mov_b32 s54, s52
	v_fma_f64 v[28:29], s[62:63], v[172:173], v[4:5]
	v_mul_f64 v[200:201], v[174:175], s[54:55]
	v_add_f64 v[24:25], v[28:29], v[24:25]
	v_fma_f64 v[28:29], v[248:249], s[36:37], -v[200:201]
	v_accvgpr_write_b32 a131, v31
	v_add_f64 v[28:29], v[28:29], v[26:27]
	v_mul_f64 v[26:27], v[254:255], s[36:37]
	v_accvgpr_write_b32 a130, v30
	v_fma_f64 v[30:31], s[54:55], v[212:213], v[26:27]
	v_mul_f64 v[194:195], v[208:209], s[34:35]
	v_add_f64 v[24:25], v[30:31], v[24:25]
	v_fma_f64 v[30:31], v[210:211], s[26:27], -v[194:195]
	v_add_f64 v[30:31], v[30:31], v[28:29]
	v_mul_f64 v[28:29], v[176:177], s[26:27]
	v_fma_f64 v[168:169], s[34:35], v[10:11], v[28:29]
	s_mov_b32 s59, 0x3feca52d
	s_mov_b32 s58, s18
	v_add_f64 v[170:171], v[168:169], v[24:25]
	v_mul_f64 v[24:25], v[12:13], s[58:59]
	v_fma_f64 v[168:169], v[178:179], s[0:1], -v[24:25]
	v_add_f64 v[168:169], v[168:169], v[30:31]
	v_mul_f64 v[30:31], v[8:9], s[0:1]
	v_fma_f64 v[36:37], s[58:59], v[14:15], v[30:31]
	v_add_f64 v[170:171], v[36:37], v[170:171]
	s_barrier
	s_and_saveexec_b64 s[42:43], s[4:5]
	s_cbranch_execz .LBB0_17
; %bb.16:
	v_mul_f64 v[36:37], v[220:221], s[34:35]
	v_accvgpr_write_b32 a87, v41
	v_accvgpr_write_b32 a153, v7
	;; [unrolled: 1-line block ×5, first 2 shown]
	v_fma_f64 v[38:39], s[26:27], v[216:217], v[36:37]
	v_accvgpr_write_b32 a152, v6
	v_mul_f64 v[6:7], v[230:231], s[50:51]
	v_add_f64 v[38:39], v[110:111], v[38:39]
	v_fma_f64 v[40:41], s[38:39], v[224:225], v[6:7]
	v_add_f64 v[38:39], v[40:41], v[38:39]
	v_mul_f64 v[40:41], v[238:239], s[46:47]
	v_accvgpr_write_b32 a157, v43
	v_accvgpr_write_b32 a156, v42
	v_fma_f64 v[42:43], s[30:31], v[232:233], v[40:41]
	v_add_f64 v[38:39], v[42:43], v[38:39]
	v_mul_f64 v[42:43], v[250:251], s[52:53]
	v_accvgpr_write_b32 a155, v45
	v_accvgpr_write_b32 a154, v44
	;; [unrolled: 5-line block ×5, first 2 shown]
	v_accvgpr_write_b32 a24, v52
	v_accvgpr_write_b32 a25, v53
	v_fma_f64 v[50:51], s[16:17], v[176:177], v[48:49]
	v_add_f64 v[38:39], v[50:51], v[38:39]
	v_mul_f64 v[50:51], v[218:219], s[34:35]
	v_accvgpr_write_b32 a26, v54
	v_fma_f64 v[52:53], v[214:215], s[26:27], -v[50:51]
	v_accvgpr_write_b32 a27, v55
	v_accvgpr_write_b32 a28, v56
	;; [unrolled: 1-line block ×3, first 2 shown]
	v_mul_f64 v[54:55], v[226:227], s[50:51]
	v_accvgpr_write_b32 a161, v21
	v_add_f64 v[52:53], v[108:109], v[52:53]
	v_accvgpr_write_b32 a160, v20
	v_fma_f64 v[20:21], v[222:223], s[38:39], -v[54:55]
	v_add_f64 v[20:21], v[20:21], v[52:53]
	v_mul_f64 v[52:53], v[234:235], s[46:47]
	v_fma_f64 v[56:57], v[228:229], s[30:31], -v[52:53]
	v_add_f64 v[20:21], v[56:57], v[20:21]
	v_mul_f64 v[56:57], v[244:245], s[52:53]
	v_accvgpr_write_b32 a163, v59
	v_accvgpr_write_b32 a162, v58
	v_fma_f64 v[58:59], v[236:237], s[36:37], -v[56:57]
	v_accvgpr_write_b32 a66, v68
	v_accvgpr_write_b32 a167, v67
	v_add_f64 v[20:21], v[58:59], v[20:21]
	v_mul_f64 v[58:59], v[252:253], s[28:29]
	v_accvgpr_write_b32 a67, v69
	v_accvgpr_write_b32 a68, v70
	;; [unrolled: 1-line block ×4, first 2 shown]
	v_mov_b64_e32 v[68:69], v[34:35]
	v_mov_b64_e32 v[66:67], v[32:33]
	v_fma_f64 v[32:33], v[242:243], s[20:21], -v[58:59]
	v_add_f64 v[20:21], v[32:33], v[20:21]
	v_mul_f64 v[32:33], v[174:175], s[58:59]
	v_fma_f64 v[34:35], v[248:249], s[0:1], -v[32:33]
	v_add_f64 v[20:21], v[34:35], v[20:21]
	v_mul_f64 v[34:35], v[208:209], s[24:25]
	v_accvgpr_write_b32 a169, v23
	v_accvgpr_write_b32 a168, v22
	v_fma_f64 v[22:23], v[210:211], s[16:17], -v[34:35]
	v_add_f64 v[20:21], v[22:23], v[20:21]
	v_mul_f64 v[22:23], v[14:15], s[62:63]
	v_mov_b64_e32 v[70:71], v[64:65]
	v_fma_f64 v[64:65], s[6:7], v[8:9], v[22:23]
	v_accvgpr_write_b32 a97, v75
	v_accvgpr_write_b32 a96, v74
	;; [unrolled: 1-line block ×4, first 2 shown]
	v_add_f64 v[74:75], v[64:65], v[38:39]
	v_mul_f64 v[38:39], v[12:13], s[62:63]
	v_fma_f64 v[64:65], v[178:179], s[6:7], -v[38:39]
	v_add_f64 v[72:73], v[64:65], v[20:21]
	v_fma_f64 v[20:21], v[216:217], s[26:27], -v[36:37]
	v_fma_f64 v[6:7], v[224:225], s[38:39], -v[6:7]
	v_add_f64 v[20:21], v[110:111], v[20:21]
	v_add_f64 v[6:7], v[6:7], v[20:21]
	v_fma_f64 v[20:21], v[232:233], s[30:31], -v[40:41]
	v_add_f64 v[6:7], v[20:21], v[6:7]
	v_fma_f64 v[20:21], v[240:241], s[36:37], -v[42:43]
	;; [unrolled: 2-line block ×5, first 2 shown]
	v_fmac_f64_e32 v[50:51], s[26:27], v[214:215]
	v_add_f64 v[6:7], v[20:21], v[6:7]
	v_fmac_f64_e32 v[54:55], s[38:39], v[222:223]
	v_add_f64 v[20:21], v[108:109], v[50:51]
	v_add_f64 v[20:21], v[54:55], v[20:21]
	v_fmac_f64_e32 v[52:53], s[30:31], v[228:229]
	v_add_f64 v[20:21], v[52:53], v[20:21]
	v_fmac_f64_e32 v[56:57], s[36:37], v[236:237]
	;; [unrolled: 2-line block ×4, first 2 shown]
	v_accvgpr_write_b32 a93, v75
	v_add_f64 v[20:21], v[32:33], v[20:21]
	v_fmac_f64_e32 v[34:35], s[16:17], v[210:211]
	v_fma_f64 v[22:23], v[8:9], s[6:7], -v[22:23]
	v_accvgpr_write_b32 a92, v74
	v_accvgpr_write_b32 a91, v73
	;; [unrolled: 1-line block ×3, first 2 shown]
	v_accvgpr_read_b32 v72, a94
	v_add_f64 v[20:21], v[34:35], v[20:21]
	v_add_f64 v[22:23], v[22:23], v[6:7]
	v_fmac_f64_e32 v[38:39], s[6:7], v[178:179]
	v_accvgpr_read_b32 v73, a95
	v_accvgpr_read_b32 v74, a96
	;; [unrolled: 1-line block ×3, first 2 shown]
	v_add_f64 v[20:21], v[38:39], v[20:21]
	v_accvgpr_write_b32 a97, v23
	v_mul_f64 v[6:7], v[220:221], s[46:47]
	v_accvgpr_write_b32 a96, v22
	v_accvgpr_write_b32 a95, v21
	;; [unrolled: 1-line block ×3, first 2 shown]
	v_fma_f64 v[20:21], s[30:31], v[216:217], v[6:7]
	v_mul_f64 v[22:23], v[230:231], s[58:59]
	v_add_f64 v[20:21], v[110:111], v[20:21]
	v_fma_f64 v[32:33], s[0:1], v[224:225], v[22:23]
	v_add_f64 v[20:21], v[32:33], v[20:21]
	v_mul_f64 v[32:33], v[238:239], s[22:23]
	v_fma_f64 v[34:35], s[6:7], v[232:233], v[32:33]
	v_add_f64 v[20:21], v[34:35], v[20:21]
	v_mul_f64 v[34:35], v[250:251], s[60:61]
	;; [unrolled: 3-line block ×6, first 2 shown]
	v_fma_f64 v[44:45], v[214:215], s[30:31], -v[42:43]
	v_mul_f64 v[46:47], v[226:227], s[58:59]
	v_add_f64 v[44:45], v[108:109], v[44:45]
	v_fma_f64 v[48:49], v[222:223], s[0:1], -v[46:47]
	v_add_f64 v[44:45], v[48:49], v[44:45]
	v_mul_f64 v[48:49], v[234:235], s[22:23]
	v_fma_f64 v[6:7], v[216:217], s[30:31], -v[6:7]
	v_fma_f64 v[50:51], v[228:229], s[6:7], -v[48:49]
	;; [unrolled: 1-line block ×3, first 2 shown]
	v_add_f64 v[6:7], v[110:111], v[6:7]
	v_add_f64 v[44:45], v[50:51], v[44:45]
	v_mul_f64 v[50:51], v[244:245], s[60:61]
	v_add_f64 v[6:7], v[22:23], v[6:7]
	v_fma_f64 v[22:23], v[232:233], s[6:7], -v[32:33]
	v_fma_f64 v[52:53], v[236:237], s[20:21], -v[50:51]
	v_add_f64 v[6:7], v[22:23], v[6:7]
	v_fma_f64 v[22:23], v[240:241], s[20:21], -v[34:35]
	v_add_f64 v[44:45], v[52:53], v[44:45]
	v_mul_f64 v[52:53], v[252:253], s[40:41]
	v_add_f64 v[6:7], v[22:23], v[6:7]
	v_fma_f64 v[22:23], v[246:247], s[38:39], -v[36:37]
	v_fma_f64 v[54:55], v[242:243], s[38:39], -v[52:53]
	v_add_f64 v[6:7], v[22:23], v[6:7]
	v_fma_f64 v[22:23], v[254:255], s[26:27], -v[38:39]
	v_add_f64 v[44:45], v[54:55], v[44:45]
	v_mul_f64 v[54:55], v[174:175], s[34:35]
	v_add_f64 v[6:7], v[22:23], v[6:7]
	v_fma_f64 v[22:23], v[176:177], s[36:37], -v[40:41]
	v_fmac_f64_e32 v[42:43], s[30:31], v[214:215]
	v_fma_f64 v[56:57], v[248:249], s[26:27], -v[54:55]
	v_add_f64 v[6:7], v[22:23], v[6:7]
	v_fmac_f64_e32 v[46:47], s[0:1], v[222:223]
	v_add_f64 v[22:23], v[108:109], v[42:43]
	v_add_f64 v[44:45], v[56:57], v[44:45]
	v_mul_f64 v[56:57], v[208:209], s[52:53]
	v_add_f64 v[22:23], v[46:47], v[22:23]
	v_fmac_f64_e32 v[48:49], s[6:7], v[228:229]
	v_fma_f64 v[58:59], v[210:211], s[36:37], -v[56:57]
	v_add_f64 v[22:23], v[48:49], v[22:23]
	v_fmac_f64_e32 v[50:51], s[20:21], v[236:237]
	v_add_f64 v[44:45], v[58:59], v[44:45]
	v_mul_f64 v[58:59], v[14:15], s[24:25]
	v_add_f64 v[22:23], v[50:51], v[22:23]
	v_fmac_f64_e32 v[52:53], s[38:39], v[242:243]
	v_fma_f64 v[64:65], s[16:17], v[8:9], v[58:59]
	v_accvgpr_write_b32 a145, v79
	v_add_f64 v[22:23], v[52:53], v[22:23]
	v_fmac_f64_e32 v[54:55], s[26:27], v[248:249]
	v_accvgpr_write_b32 a144, v78
	v_accvgpr_write_b32 a143, v77
	;; [unrolled: 1-line block ×3, first 2 shown]
	v_add_f64 v[78:79], v[64:65], v[20:21]
	v_mul_f64 v[20:21], v[12:13], s[24:25]
	v_add_f64 v[22:23], v[54:55], v[22:23]
	v_fmac_f64_e32 v[56:57], s[36:37], v[210:211]
	v_fma_f64 v[64:65], v[178:179], s[16:17], -v[20:21]
	v_add_f64 v[22:23], v[56:57], v[22:23]
	v_fma_f64 v[32:33], v[8:9], s[16:17], -v[58:59]
	v_fmac_f64_e32 v[20:21], s[16:17], v[178:179]
	v_add_f64 v[34:35], v[32:33], v[6:7]
	v_add_f64 v[32:33], v[20:21], v[22:23]
	v_mul_f64 v[22:23], v[212:213], s[54:55]
	v_add_f64 v[22:23], v[26:27], -v[22:23]
	v_mul_f64 v[26:27], v[172:173], s[62:63]
	v_add_f64 v[4:5], v[4:5], -v[26:27]
	v_mul_f64 v[26:27], v[250:251], s[46:47]
	v_mul_f64 v[20:21], v[10:11], s[34:35]
	v_add_f64 v[18:19], v[18:19], -v[26:27]
	v_mul_f64 v[26:27], v[238:239], s[40:41]
	v_add_f64 v[20:21], v[28:29], -v[20:21]
	v_add_f64 v[16:17], v[16:17], -v[26:27]
	v_mul_f64 v[26:27], v[230:231], s[48:49]
	v_accvgpr_read_b32 v28, a110
	v_add_f64 v[2:3], v[2:3], -v[26:27]
	v_mul_f64 v[26:27], v[220:221], s[28:29]
	v_accvgpr_read_b32 v29, a111
	v_add_f64 v[26:27], v[28:29], -v[26:27]
	v_add_f64 v[26:27], v[110:111], v[26:27]
	v_add_f64 v[2:3], v[2:3], v[26:27]
	;; [unrolled: 1-line block ×4, first 2 shown]
	v_accvgpr_read_b32 v28, a102
	v_add_f64 v[2:3], v[4:5], v[2:3]
	v_mul_f64 v[4:5], v[178:179], s[0:1]
	v_mul_f64 v[26:27], v[214:215], s[20:21]
	v_accvgpr_read_b32 v29, a103
	v_add_f64 v[2:3], v[22:23], v[2:3]
	v_add_f64 v[4:5], v[4:5], v[24:25]
	v_mul_f64 v[24:25], v[222:223], s[16:17]
	v_add_f64 v[26:27], v[26:27], v[28:29]
	v_add_f64 v[2:3], v[20:21], v[2:3]
	v_mul_f64 v[20:21], v[242:243], s[6:7]
	v_mul_f64 v[22:23], v[228:229], s[38:39]
	v_add_f64 v[24:25], v[24:25], v[190:191]
	v_add_f64 v[26:27], v[108:109], v[26:27]
	;; [unrolled: 1-line block ×3, first 2 shown]
	v_mul_f64 v[20:21], v[236:237], s[30:31]
	v_add_f64 v[22:23], v[22:23], v[188:189]
	v_add_f64 v[24:25], v[24:25], v[26:27]
	;; [unrolled: 1-line block ×4, first 2 shown]
	v_mul_f64 v[18:19], v[248:249], s[36:37]
	v_add_f64 v[20:21], v[20:21], v[22:23]
	v_mul_f64 v[16:17], v[210:211], s[26:27]
	v_add_f64 v[18:19], v[18:19], v[200:201]
	v_add_f64 v[0:1], v[0:1], v[20:21]
	v_add_f64 v[16:17], v[16:17], v[194:195]
	v_add_f64 v[0:1], v[18:19], v[0:1]
	v_accvgpr_read_b32 v18, a148
	v_add_f64 v[0:1], v[16:17], v[0:1]
	v_mul_f64 v[16:17], v[250:251], s[18:19]
	v_accvgpr_read_b32 v19, a149
	v_accvgpr_read_b32 v20, a128
	v_add_f64 v[16:17], v[18:19], -v[16:17]
	v_mul_f64 v[18:19], v[238:239], s[52:53]
	v_accvgpr_read_b32 v21, a129
	v_accvgpr_read_b32 v22, a114
	v_add_f64 v[18:19], v[20:21], -v[18:19]
	;; [unrolled: 4-line block ×3, first 2 shown]
	v_mul_f64 v[22:23], v[220:221], s[24:25]
	v_accvgpr_read_b32 v25, a83
	v_add_f64 v[22:23], v[24:25], -v[22:23]
	v_add_f64 v[22:23], v[110:111], v[22:23]
	v_add_f64 v[20:21], v[20:21], v[22:23]
	;; [unrolled: 1-line block ×3, first 2 shown]
	v_accvgpr_read_b32 v20, a150
	v_add_f64 v[16:17], v[16:17], v[18:19]
	v_mul_f64 v[18:19], v[242:243], s[26:27]
	v_accvgpr_read_b32 v21, a151
	v_accvgpr_read_b32 v22, a134
	v_add_f64 v[18:19], v[18:19], v[20:21]
	v_mul_f64 v[20:21], v[236:237], s[0:1]
	v_accvgpr_read_b32 v23, a135
	;; [unrolled: 4-line block ×5, first 2 shown]
	v_mul_f64 v[6:7], v[14:15], s[58:59]
	v_add_f64 v[26:27], v[26:27], v[28:29]
	v_add_f64 v[6:7], v[30:31], -v[6:7]
	v_add_f64 v[26:27], v[108:109], v[26:27]
	v_add_f64 v[190:191], v[6:7], v[2:3]
	v_mul_f64 v[6:7], v[172:173], s[34:35]
	v_add_f64 v[24:25], v[24:25], v[26:27]
	v_add_f64 v[188:189], v[4:5], v[0:1]
	v_mul_f64 v[4:5], v[212:213], s[62:63]
	v_add_f64 v[6:7], v[180:181], -v[6:7]
	v_add_f64 v[22:23], v[22:23], v[24:25]
	v_mul_f64 v[2:3], v[10:11], s[40:41]
	v_add_f64 v[4:5], v[204:205], -v[4:5]
	v_add_f64 v[6:7], v[6:7], v[16:17]
	v_mul_f64 v[16:17], v[248:249], s[6:7]
	v_add_f64 v[20:21], v[20:21], v[22:23]
	v_add_f64 v[2:3], v[186:187], -v[2:3]
	v_add_f64 v[4:5], v[4:5], v[6:7]
	v_mul_f64 v[6:7], v[210:211], s[38:39]
	v_add_f64 v[16:17], v[16:17], v[182:183]
	v_add_f64 v[18:19], v[18:19], v[20:21]
	;; [unrolled: 1-line block ×3, first 2 shown]
	v_mul_f64 v[4:5], v[178:179], s[20:21]
	v_add_f64 v[6:7], v[6:7], v[184:185]
	v_add_f64 v[16:17], v[16:17], v[18:19]
	v_mul_f64 v[0:1], v[14:15], s[28:29]
	v_add_f64 v[4:5], v[4:5], v[198:199]
	v_add_f64 v[6:7], v[6:7], v[16:17]
	v_accvgpr_read_b32 v24, a146
	v_add_f64 v[76:77], v[64:65], v[44:45]
	v_accvgpr_write_b32 a141, v79
	v_add_f64 v[0:1], v[192:193], -v[0:1]
	v_add_f64 v[192:193], v[4:5], v[6:7]
	v_mul_f64 v[6:7], v[212:213], s[46:47]
	v_accvgpr_read_b32 v25, a147
	v_accvgpr_read_b32 v26, a132
	v_accvgpr_write_b32 a140, v78
	v_accvgpr_write_b32 a139, v77
	;; [unrolled: 1-line block ×3, first 2 shown]
	v_accvgpr_read_b32 v76, a142
	v_add_f64 v[6:7], v[24:25], -v[6:7]
	v_mul_f64 v[24:25], v[172:173], s[18:19]
	v_accvgpr_read_b32 v27, a133
	v_accvgpr_read_b32 v28, a120
	;; [unrolled: 1-line block ×5, first 2 shown]
	v_accvgpr_write_b32 a145, v35
	v_add_f64 v[24:25], v[26:27], -v[24:25]
	v_mul_f64 v[26:27], v[250:251], s[50:51]
	v_accvgpr_read_b32 v29, a121
	v_accvgpr_read_b32 v30, a100
	v_accvgpr_write_b32 a144, v34
	v_accvgpr_write_b32 a143, v33
	v_accvgpr_write_b32 a142, v32
	v_mul_f64 v[16:17], v[220:221], s[22:23]
	v_add_f64 v[26:27], v[28:29], -v[26:27]
	v_mul_f64 v[28:29], v[238:239], s[48:49]
	v_accvgpr_read_b32 v31, a101
	v_accvgpr_read_b32 v32, a80
	v_add_f64 v[28:29], v[30:31], -v[28:29]
	v_mul_f64 v[30:31], v[230:231], s[34:35]
	v_accvgpr_read_b32 v33, a81
	v_add_f64 v[16:17], v[70:71], -v[16:17]
	v_add_f64 v[30:31], v[32:33], -v[30:31]
	v_add_f64 v[16:17], v[110:111], v[16:17]
	v_add_f64 v[16:17], v[30:31], v[16:17]
	;; [unrolled: 1-line block ×4, first 2 shown]
	v_accvgpr_read_b32 v50, a164
	v_mul_f64 v[18:19], v[214:215], s[6:7]
	v_mul_f64 v[4:5], v[10:11], s[60:61]
	v_add_f64 v[16:17], v[24:25], v[16:17]
	v_accvgpr_read_b32 v48, a70
	v_accvgpr_read_b32 v51, a165
	v_add_f64 v[194:195], v[0:1], v[2:3]
	v_mul_f64 v[2:3], v[14:15], s[52:53]
	v_add_f64 v[4:5], v[206:207], -v[4:5]
	v_mul_f64 v[34:35], v[222:223], s[26:27]
	v_add_f64 v[6:7], v[6:7], v[16:17]
	v_accvgpr_read_b32 v46, a78
	v_accvgpr_read_b32 v49, a71
	v_add_f64 v[18:19], v[18:19], v[50:51]
	v_add_f64 v[2:3], v[196:197], -v[2:3]
	v_mul_f64 v[26:27], v[228:229], s[16:17]
	v_add_f64 v[4:5], v[4:5], v[6:7]
	v_accvgpr_read_b32 v47, a79
	v_add_f64 v[34:35], v[34:35], v[48:49]
	v_add_f64 v[18:19], v[108:109], v[18:19]
	;; [unrolled: 1-line block ×5, first 2 shown]
	v_accvgpr_read_b32 v4, a118
	v_add_f64 v[18:19], v[26:27], v[18:19]
	v_mul_f64 v[26:27], v[10:11], s[22:23]
	v_accvgpr_read_b32 v5, a119
	v_add_f64 v[4:5], v[4:5], -v[26:27]
	v_accvgpr_read_b32 v26, a76
	v_mul_f64 v[16:17], v[250:251], s[48:49]
	v_accvgpr_read_b32 v36, a168
	v_accvgpr_read_b32 v27, a77
	v_mul_f64 v[6:7], v[178:179], s[36:37]
	v_accvgpr_read_b32 v37, a169
	v_accvgpr_read_b32 v38, a136
	v_add_f64 v[16:17], v[26:27], -v[16:17]
	v_accvgpr_read_b32 v26, a166
	v_mul_f64 v[28:29], v[238:239], s[56:57]
	v_add_f64 v[6:7], v[6:7], v[36:37]
	v_mul_f64 v[36:37], v[210:211], s[20:21]
	v_accvgpr_read_b32 v39, a137
	v_accvgpr_read_b32 v40, a126
	;; [unrolled: 1-line block ×3, first 2 shown]
	v_add_f64 v[36:37], v[36:37], v[38:39]
	v_mul_f64 v[38:39], v[248:249], s[30:31]
	v_accvgpr_read_b32 v41, a127
	v_accvgpr_read_b32 v42, a116
	v_add_f64 v[26:27], v[26:27], -v[28:29]
	v_accvgpr_read_b32 v28, a158
	v_mul_f64 v[32:33], v[230:231], s[28:29]
	v_add_f64 v[38:39], v[38:39], v[40:41]
	v_mul_f64 v[40:41], v[242:243], s[0:1]
	v_accvgpr_read_b32 v43, a117
	v_accvgpr_read_b32 v44, a104
	v_accvgpr_read_b32 v29, a159
	v_add_f64 v[40:41], v[40:41], v[42:43]
	v_mul_f64 v[42:43], v[236:237], s[38:39]
	v_accvgpr_read_b32 v45, a105
	v_add_f64 v[28:29], v[28:29], -v[32:33]
	v_accvgpr_read_b32 v32, a156
	v_mul_f64 v[20:21], v[220:221], s[18:19]
	v_add_f64 v[42:43], v[42:43], v[44:45]
	v_accvgpr_read_b32 v33, a157
	v_add_f64 v[18:19], v[42:43], v[18:19]
	v_add_f64 v[20:21], v[32:33], -v[20:21]
	v_add_f64 v[18:19], v[40:41], v[18:19]
	v_add_f64 v[20:21], v[110:111], v[20:21]
	;; [unrolled: 1-line block ×3, first 2 shown]
	v_accvgpr_read_b32 v18, a88
	v_add_f64 v[20:21], v[28:29], v[20:21]
	v_mul_f64 v[46:47], v[172:173], s[52:53]
	v_accvgpr_read_b32 v19, a89
	v_add_f64 v[20:21], v[26:27], v[20:21]
	v_add_f64 v[18:19], v[18:19], -v[46:47]
	v_add_f64 v[16:17], v[16:17], v[20:21]
	v_add_f64 v[16:17], v[18:19], v[16:17]
	v_accvgpr_read_b32 v18, a72
	v_mul_f64 v[24:25], v[236:237], s[16:17]
	v_add_f64 v[2:3], v[36:37], v[2:3]
	v_accvgpr_read_b32 v19, a73
	v_add_f64 v[196:197], v[6:7], v[2:3]
	v_accvgpr_read_b32 v6, a108
	;; [unrolled: 2-line block ×3, first 2 shown]
	v_mul_f64 v[0:1], v[222:223], s[20:21]
	v_mul_f64 v[50:51], v[212:213], s[40:41]
	v_accvgpr_read_b32 v7, a109
	v_accvgpr_read_b32 v25, a155
	;; [unrolled: 1-line block ×3, first 2 shown]
	v_add_f64 v[6:7], v[6:7], -v[50:51]
	v_add_f64 v[0:1], v[0:1], v[24:25]
	v_accvgpr_read_b32 v24, a160
	v_mul_f64 v[22:23], v[214:215], s[0:1]
	v_mul_f64 v[40:41], v[14:15], s[46:47]
	v_accvgpr_read_b32 v3, a131
	v_add_f64 v[6:7], v[6:7], v[16:17]
	v_accvgpr_read_b32 v25, a161
	v_add_f64 v[2:3], v[2:3], -v[40:41]
	v_add_f64 v[4:5], v[4:5], v[6:7]
	v_accvgpr_read_b32 v20, a162
	v_add_f64 v[22:23], v[22:23], v[24:25]
	v_mul_f64 v[30:31], v[228:229], s[26:27]
	v_add_f64 v[206:207], v[2:3], v[4:5]
	v_accvgpr_read_b32 v4, a112
	v_accvgpr_read_b32 v21, a163
	v_add_f64 v[22:23], v[108:109], v[22:23]
	v_mul_f64 v[36:37], v[220:221], s[54:55]
	v_mul_f64 v[34:35], v[210:211], s[6:7]
	v_accvgpr_read_b32 v5, a113
	v_accvgpr_read_b32 v6, a98
	v_accvgpr_read_b32 v16, a152
	v_add_f64 v[20:21], v[30:31], v[20:21]
	v_add_f64 v[0:1], v[0:1], v[22:23]
	v_mul_f64 v[32:33], v[230:231], s[22:23]
	v_fma_f64 v[38:39], s[36:37], v[216:217], v[36:37]
	v_mul_f64 v[44:45], v[242:243], s[36:37]
	v_mul_f64 v[48:49], v[248:249], s[38:39]
	v_add_f64 v[4:5], v[34:35], v[4:5]
	v_accvgpr_read_b32 v7, a99
	v_accvgpr_read_b32 v17, a153
	v_add_f64 v[0:1], v[20:21], v[0:1]
	v_mul_f64 v[28:29], v[238:239], s[28:29]
	v_fma_f64 v[34:35], s[6:7], v[224:225], v[32:33]
	v_add_f64 v[38:39], v[110:111], v[38:39]
	v_mul_f64 v[52:53], v[218:219], s[54:55]
	v_add_f64 v[6:7], v[48:49], v[6:7]
	v_add_f64 v[16:17], v[44:45], v[16:17]
	;; [unrolled: 1-line block ×3, first 2 shown]
	v_mul_f64 v[24:25], v[250:251], s[34:35]
	v_fma_f64 v[30:31], s[20:21], v[232:233], v[28:29]
	v_add_f64 v[34:35], v[34:35], v[38:39]
	v_mul_f64 v[48:49], v[226:227], s[22:23]
	v_fma_f64 v[54:55], v[214:215], s[36:37], -v[52:53]
	v_accvgpr_read_b32 v2, a124
	v_add_f64 v[0:1], v[16:17], v[0:1]
	v_mul_f64 v[20:21], v[172:173], s[44:45]
	v_fma_f64 v[26:27], s[26:27], v[240:241], v[24:25]
	v_add_f64 v[30:31], v[30:31], v[34:35]
	v_mul_f64 v[44:45], v[234:235], s[28:29]
	v_fma_f64 v[50:51], v[222:223], s[6:7], -v[48:49]
	v_add_f64 v[54:55], v[108:109], v[54:55]
	v_mul_f64 v[42:43], v[178:179], s[30:31]
	v_accvgpr_read_b32 v3, a125
	v_add_f64 v[0:1], v[6:7], v[0:1]
	v_mul_f64 v[16:17], v[212:213], s[48:49]
	v_fma_f64 v[22:23], s[30:31], v[246:247], v[20:21]
	v_add_f64 v[26:27], v[26:27], v[30:31]
	v_mul_f64 v[40:41], v[244:245], s[34:35]
	v_fma_f64 v[46:47], v[228:229], s[20:21], -v[44:45]
	v_add_f64 v[50:51], v[50:51], v[54:55]
	v_add_f64 v[2:3], v[42:43], v[2:3]
	;; [unrolled: 1-line block ×3, first 2 shown]
	v_mul_f64 v[4:5], v[10:11], s[58:59]
	v_fma_f64 v[18:19], s[16:17], v[254:255], v[16:17]
	v_add_f64 v[22:23], v[22:23], v[26:27]
	v_mul_f64 v[34:35], v[252:253], s[44:45]
	v_fma_f64 v[42:43], v[236:237], s[26:27], -v[40:41]
	v_add_f64 v[46:47], v[46:47], v[50:51]
	v_add_f64 v[204:205], v[2:3], v[0:1]
	v_mul_f64 v[0:1], v[14:15], s[50:51]
	v_fma_f64 v[6:7], s[0:1], v[176:177], v[4:5]
	v_add_f64 v[18:19], v[18:19], v[22:23]
	v_mul_f64 v[26:27], v[174:175], s[48:49]
	v_fma_f64 v[38:39], v[242:243], s[30:31], -v[34:35]
	v_add_f64 v[42:43], v[42:43], v[46:47]
	v_fma_f64 v[2:3], s[38:39], v[8:9], v[0:1]
	v_add_f64 v[6:7], v[6:7], v[18:19]
	v_mul_f64 v[18:19], v[208:209], s[58:59]
	v_fma_f64 v[30:31], v[248:249], s[16:17], -v[26:27]
	v_add_f64 v[38:39], v[38:39], v[42:43]
	v_add_f64 v[202:203], v[2:3], v[6:7]
	v_mul_f64 v[6:7], v[12:13], s[50:51]
	v_fma_f64 v[22:23], v[210:211], s[0:1], -v[18:19]
	v_add_f64 v[30:31], v[30:31], v[38:39]
	v_fma_f64 v[2:3], v[178:179], s[38:39], -v[6:7]
	v_add_f64 v[22:23], v[22:23], v[30:31]
	v_add_f64 v[200:201], v[2:3], v[22:23]
	v_fma_f64 v[22:23], v[232:233], s[20:21], -v[28:29]
	v_fma_f64 v[28:29], v[216:217], s[36:37], -v[36:37]
	v_fma_f64 v[2:3], v[176:177], s[0:1], -v[4:5]
	v_fma_f64 v[4:5], v[254:255], s[16:17], -v[16:17]
	v_fma_f64 v[16:17], v[246:247], s[30:31], -v[20:21]
	v_fma_f64 v[20:21], v[240:241], s[26:27], -v[24:25]
	v_fma_f64 v[24:25], v[224:225], s[6:7], -v[32:33]
	v_add_f64 v[28:29], v[110:111], v[28:29]
	v_add_f64 v[24:25], v[24:25], v[28:29]
	;; [unrolled: 1-line block ×6, first 2 shown]
	v_fma_f64 v[0:1], v[8:9], s[38:39], -v[0:1]
	v_add_f64 v[2:3], v[2:3], v[4:5]
	v_fmac_f64_e32 v[52:53], s[36:37], v[214:215]
	v_add_f64 v[2:3], v[0:1], v[2:3]
	v_fmac_f64_e32 v[48:49], s[6:7], v[222:223]
	;; [unrolled: 2-line block ×4, first 2 shown]
	v_add_f64 v[0:1], v[44:45], v[0:1]
	v_mul_f64 v[36:37], v[220:221], s[40:41]
	v_fmac_f64_e32 v[34:35], s[30:31], v[242:243]
	v_add_f64 v[0:1], v[40:41], v[0:1]
	v_mul_f64 v[32:33], v[230:231], s[54:55]
	v_fma_f64 v[38:39], s[38:39], v[216:217], v[36:37]
	v_add_f64 v[0:1], v[34:35], v[0:1]
	v_mul_f64 v[28:29], v[238:239], s[18:19]
	v_fma_f64 v[34:35], s[36:37], v[224:225], v[32:33]
	v_add_f64 v[38:39], v[110:111], v[38:39]
	v_mul_f64 v[52:53], v[218:219], s[40:41]
	v_fmac_f64_e32 v[26:27], s[16:17], v[248:249]
	v_mul_f64 v[24:25], v[250:251], s[22:23]
	v_fma_f64 v[30:31], s[0:1], v[232:233], v[28:29]
	v_add_f64 v[34:35], v[34:35], v[38:39]
	v_mul_f64 v[48:49], v[226:227], s[54:55]
	v_fma_f64 v[54:55], v[214:215], s[38:39], -v[52:53]
	v_add_f64 v[0:1], v[26:27], v[0:1]
	v_mul_f64 v[20:21], v[172:173], s[24:25]
	v_fma_f64 v[26:27], s[6:7], v[240:241], v[24:25]
	v_add_f64 v[30:31], v[30:31], v[34:35]
	v_mul_f64 v[44:45], v[234:235], s[18:19]
	v_fma_f64 v[50:51], v[222:223], s[36:37], -v[48:49]
	v_add_f64 v[54:55], v[108:109], v[54:55]
	v_fmac_f64_e32 v[18:19], s[0:1], v[210:211]
	v_mul_f64 v[16:17], v[212:213], s[28:29]
	v_fma_f64 v[22:23], s[16:17], v[246:247], v[20:21]
	v_add_f64 v[26:27], v[26:27], v[30:31]
	v_mul_f64 v[40:41], v[244:245], s[22:23]
	v_fma_f64 v[46:47], v[228:229], s[0:1], -v[44:45]
	v_add_f64 v[50:51], v[50:51], v[54:55]
	v_fmac_f64_e32 v[6:7], s[38:39], v[178:179]
	v_add_f64 v[0:1], v[18:19], v[0:1]
	v_mul_f64 v[10:11], v[10:11], s[46:47]
	v_fma_f64 v[18:19], s[20:21], v[254:255], v[16:17]
	v_add_f64 v[22:23], v[22:23], v[26:27]
	v_mul_f64 v[34:35], v[252:253], s[24:25]
	v_fma_f64 v[42:43], v[236:237], s[6:7], -v[40:41]
	v_add_f64 v[46:47], v[46:47], v[50:51]
	v_add_f64 v[0:1], v[6:7], v[0:1]
	v_fma_f64 v[6:7], s[30:31], v[176:177], v[10:11]
	v_add_f64 v[18:19], v[18:19], v[22:23]
	v_mul_f64 v[26:27], v[174:175], s[28:29]
	v_fma_f64 v[38:39], v[242:243], s[16:17], -v[34:35]
	v_add_f64 v[42:43], v[42:43], v[46:47]
	v_mul_f64 v[14:15], v[14:15], s[34:35]
	v_add_f64 v[6:7], v[6:7], v[18:19]
	v_mul_f64 v[18:19], v[208:209], s[46:47]
	v_fma_f64 v[30:31], v[248:249], s[20:21], -v[26:27]
	v_add_f64 v[38:39], v[38:39], v[42:43]
	v_fma_f64 v[4:5], s[26:27], v[8:9], v[14:15]
	v_mul_f64 v[12:13], v[12:13], s[34:35]
	v_fma_f64 v[22:23], v[210:211], s[30:31], -v[18:19]
	v_add_f64 v[30:31], v[30:31], v[38:39]
	v_add_f64 v[6:7], v[4:5], v[6:7]
	v_fma_f64 v[4:5], v[178:179], s[26:27], -v[12:13]
	v_add_f64 v[22:23], v[22:23], v[30:31]
	v_add_f64 v[4:5], v[4:5], v[22:23]
	v_fma_f64 v[22:23], v[232:233], s[0:1], -v[28:29]
	v_fma_f64 v[28:29], v[216:217], s[38:39], -v[36:37]
	;; [unrolled: 1-line block ×7, first 2 shown]
	v_add_f64 v[28:29], v[110:111], v[28:29]
	v_add_f64 v[24:25], v[24:25], v[28:29]
	;; [unrolled: 1-line block ×5, first 2 shown]
	v_fma_f64 v[10:11], v[176:177], s[30:31], -v[10:11]
	v_add_f64 v[14:15], v[14:15], v[16:17]
	v_add_f64 v[10:11], v[10:11], v[14:15]
	v_fmac_f64_e32 v[52:53], s[38:39], v[214:215]
	v_add_f64 v[10:11], v[8:9], v[10:11]
	v_fmac_f64_e32 v[48:49], s[36:37], v[222:223]
	;; [unrolled: 2-line block ×8, first 2 shown]
	v_add_f64 v[8:9], v[18:19], v[8:9]
	v_add_f64 v[8:9], v[12:13], v[8:9]
	;; [unrolled: 1-line block ×15, first 2 shown]
	v_accvgpr_read_b32 v16, a84
	v_add_f64 v[12:13], v[12:13], v[150:151]
	v_accvgpr_read_b32 v18, a86
	v_accvgpr_read_b32 v19, a87
	v_add_f64 v[12:13], v[12:13], v[18:19]
	v_add_f64 v[14:15], v[12:13], v[68:69]
	;; [unrolled: 1-line block ×15, first 2 shown]
	v_accvgpr_read_b32 v17, a85
	v_add_f64 v[12:13], v[12:13], v[148:149]
	v_add_f64 v[12:13], v[12:13], v[16:17]
	v_accvgpr_read_b32 v16, a2
	v_accvgpr_read_b32 v57, a29
	;; [unrolled: 1-line block ×4, first 2 shown]
	v_mul_lo_u16_e32 v16, 17, v16
	v_accvgpr_read_b32 v17, a5
	v_accvgpr_read_b32 v56, a28
	;; [unrolled: 1-line block ×10, first 2 shown]
	v_add_f64 v[12:13], v[12:13], v[66:67]
	v_lshl_add_u32 v16, v16, 4, v17
	ds_write_b128 v16, v[12:15]
	ds_write_b128 v16, v[8:11] offset:16
	ds_write_b128 v16, v[0:3] offset:32
	;; [unrolled: 1-line block ×16, first 2 shown]
.LBB0_17:
	s_or_b64 exec, exec, s[42:43]
	v_accvgpr_read_b32 v32, a34
	v_accvgpr_read_b32 v34, a36
	;; [unrolled: 1-line block ×3, first 2 shown]
	s_waitcnt lgkmcnt(0)
	s_barrier
	ds_read_b128 v[0:3], v60
	ds_read_b128 v[4:7], v60 offset:1360
	ds_read_b128 v[8:11], v60 offset:2720
	;; [unrolled: 1-line block ×10, first 2 shown]
	v_accvgpr_read_b32 v33, a35
	s_waitcnt lgkmcnt(9)
	v_mul_f64 v[30:31], v[34:35], v[6:7]
	v_accvgpr_read_b32 v39, a33
	v_fmac_f64_e32 v[30:31], v[32:33], v[4:5]
	v_mul_f64 v[4:5], v[34:35], v[4:5]
	v_accvgpr_read_b32 v38, a32
	v_fma_f64 v[32:33], v[32:33], v[6:7], -v[4:5]
	v_accvgpr_read_b32 v37, a31
	v_accvgpr_read_b32 v36, a30
	s_waitcnt lgkmcnt(8)
	v_mul_f64 v[34:35], v[38:39], v[10:11]
	v_mul_f64 v[4:5], v[38:39], v[8:9]
	s_waitcnt lgkmcnt(7)
	v_mul_f64 v[38:39], v[56:57], v[14:15]
	v_fmac_f64_e32 v[34:35], v[36:37], v[8:9]
	v_fma_f64 v[36:37], v[36:37], v[10:11], -v[4:5]
	v_fmac_f64_e32 v[38:39], v[54:55], v[12:13]
	v_mul_f64 v[4:5], v[56:57], v[12:13]
	v_accvgpr_read_b32 v10, a50
	v_accvgpr_read_b32 v12, a52
	;; [unrolled: 1-line block ×3, first 2 shown]
	v_fma_f64 v[40:41], v[54:55], v[14:15], -v[4:5]
	s_waitcnt lgkmcnt(6)
	v_mul_f64 v[16:17], v[52:53], v[20:21]
	v_mul_f64 v[4:5], v[52:53], v[18:19]
	v_accvgpr_read_b32 v11, a51
	s_waitcnt lgkmcnt(5)
	v_mul_f64 v[8:9], v[12:13], v[24:25]
	v_fmac_f64_e32 v[16:17], v[50:51], v[18:19]
	v_fma_f64 v[18:19], v[50:51], v[20:21], -v[4:5]
	v_fmac_f64_e32 v[8:9], v[10:11], v[22:23]
	v_mul_f64 v[4:5], v[12:13], v[22:23]
	v_accvgpr_read_b32 v20, a46
	v_accvgpr_read_b32 v22, a48
	;; [unrolled: 1-line block ×3, first 2 shown]
	v_fma_f64 v[10:11], v[10:11], v[24:25], -v[4:5]
	v_accvgpr_read_b32 v21, a47
	s_waitcnt lgkmcnt(4)
	v_mul_f64 v[12:13], v[22:23], v[28:29]
	v_mul_f64 v[4:5], v[22:23], v[26:27]
	v_accvgpr_read_b32 v22, a42
	v_fmac_f64_e32 v[12:13], v[20:21], v[26:27]
	v_fma_f64 v[14:15], v[20:21], v[28:29], -v[4:5]
	v_accvgpr_read_b32 v24, a44
	v_accvgpr_read_b32 v25, a45
	;; [unrolled: 1-line block ×4, first 2 shown]
	s_waitcnt lgkmcnt(3)
	v_mul_f64 v[20:21], v[24:25], v[98:99]
	v_mul_f64 v[4:5], v[24:25], v[96:97]
	v_accvgpr_read_b32 v28, a40
	v_accvgpr_read_b32 v29, a41
	v_accvgpr_read_b32 v42, a58
	v_fmac_f64_e32 v[20:21], v[22:23], v[96:97]
	v_fma_f64 v[22:23], v[22:23], v[98:99], -v[4:5]
	v_accvgpr_read_b32 v27, a39
	s_waitcnt lgkmcnt(2)
	v_mul_f64 v[24:25], v[28:29], v[102:103]
	v_mul_f64 v[4:5], v[28:29], v[100:101]
	v_accvgpr_read_b32 v44, a60
	v_accvgpr_read_b32 v45, a61
	;; [unrolled: 1-line block ×3, first 2 shown]
	v_fmac_f64_e32 v[24:25], v[26:27], v[100:101]
	v_fma_f64 v[26:27], v[26:27], v[102:103], -v[4:5]
	v_accvgpr_read_b32 v43, a59
	s_waitcnt lgkmcnt(1)
	v_mul_f64 v[28:29], v[44:45], v[106:107]
	v_mul_f64 v[4:5], v[44:45], v[104:105]
	v_accvgpr_read_b32 v48, a56
	v_accvgpr_read_b32 v49, a57
	v_fmac_f64_e32 v[28:29], v[42:43], v[104:105]
	v_fma_f64 v[42:43], v[42:43], v[106:107], -v[4:5]
	v_accvgpr_read_b32 v47, a55
	s_waitcnt lgkmcnt(0)
	v_mul_f64 v[44:45], v[48:49], v[110:111]
	v_mul_f64 v[4:5], v[48:49], v[108:109]
	v_fmac_f64_e32 v[44:45], v[46:47], v[108:109]
	v_fma_f64 v[46:47], v[46:47], v[110:111], -v[4:5]
	v_add_f64 v[4:5], v[0:1], v[30:31]
	v_add_f64 v[6:7], v[2:3], v[32:33]
	;; [unrolled: 1-line block ×15, first 2 shown]
	s_mov_b32 s22, 0xf8bb580b
	s_mov_b32 s24, 0x8764f0ba
	;; [unrolled: 1-line block ×10, first 2 shown]
	v_add_f64 v[6:7], v[6:7], v[26:27]
	v_add_f64 v[4:5], v[4:5], v[28:29]
	v_add_f64 v[50:51], v[32:33], v[46:47]
	v_add_f64 v[32:33], v[32:33], -v[46:47]
	s_mov_b32 s23, 0xbfe14ced
	s_mov_b32 s25, 0x3feaeb8c
	;; [unrolled: 1-line block ×10, first 2 shown]
	v_add_f64 v[6:7], v[6:7], v[42:43]
	v_add_f64 v[4:5], v[4:5], v[44:45]
	;; [unrolled: 1-line block ×3, first 2 shown]
	v_add_f64 v[30:31], v[30:31], -v[44:45]
	v_mul_f64 v[44:45], v[32:33], s[22:23]
	v_mul_f64 v[52:53], v[50:51], s[24:25]
	s_mov_b32 s27, 0x3fe14ced
	s_mov_b32 s26, s22
	v_mul_f64 v[56:57], v[32:33], s[6:7]
	v_mul_f64 v[64:65], v[50:51], s[16:17]
	s_mov_b32 s19, 0x3fed1bb4
	s_mov_b32 s18, s6
	;; [unrolled: 4-line block ×5, first 2 shown]
	v_add_f64 v[6:7], v[6:7], v[46:47]
	v_fma_f64 v[46:47], s[24:25], v[48:49], v[44:45]
	v_fma_f64 v[54:55], s[26:27], v[30:31], v[52:53]
	v_fma_f64 v[44:45], v[48:49], s[24:25], -v[44:45]
	v_fmac_f64_e32 v[52:53], s[22:23], v[30:31]
	v_fma_f64 v[58:59], s[16:17], v[48:49], v[56:57]
	v_fma_f64 v[66:67], s[18:19], v[30:31], v[64:65]
	v_fma_f64 v[56:57], v[48:49], s[16:17], -v[56:57]
	v_fmac_f64_e32 v[64:65], s[6:7], v[30:31]
	;; [unrolled: 4-line block ×5, first 2 shown]
	v_add_f64 v[30:31], v[34:35], v[28:29]
	v_add_f64 v[28:29], v[34:35], -v[28:29]
	v_add_f64 v[34:35], v[36:37], -v[42:43]
	v_add_f64 v[46:47], v[0:1], v[46:47]
	v_add_f64 v[44:45], v[0:1], v[44:45]
	;; [unrolled: 1-line block ×11, first 2 shown]
	v_mul_f64 v[36:37], v[34:35], s[6:7]
	v_fma_f64 v[42:43], s[16:17], v[30:31], v[36:37]
	v_add_f64 v[42:43], v[42:43], v[46:47]
	v_mul_f64 v[46:47], v[32:33], s[16:17]
	v_add_f64 v[52:53], v[2:3], v[52:53]
	v_fma_f64 v[48:49], s[18:19], v[28:29], v[46:47]
	v_fma_f64 v[36:37], v[30:31], s[16:17], -v[36:37]
	v_fmac_f64_e32 v[46:47], s[6:7], v[28:29]
	v_add_f64 v[36:37], v[36:37], v[44:45]
	v_add_f64 v[44:45], v[46:47], v[52:53]
	v_mul_f64 v[46:47], v[34:35], s[30:31]
	v_add_f64 v[54:55], v[2:3], v[54:55]
	v_add_f64 v[66:67], v[2:3], v[66:67]
	;; [unrolled: 1-line block ×9, first 2 shown]
	v_fma_f64 v[50:51], s[34:35], v[30:31], v[46:47]
	v_fma_f64 v[46:47], v[30:31], s[34:35], -v[46:47]
	v_mul_f64 v[52:53], v[32:33], s[34:35]
	v_add_f64 v[46:47], v[46:47], v[56:57]
	v_mul_f64 v[56:57], v[34:35], s[42:43]
	v_add_f64 v[48:49], v[48:49], v[54:55]
	v_add_f64 v[50:51], v[50:51], v[58:59]
	v_fma_f64 v[54:55], s[36:37], v[28:29], v[52:53]
	v_fmac_f64_e32 v[52:53], s[30:31], v[28:29]
	v_fma_f64 v[58:59], s[40:41], v[30:31], v[56:57]
	v_fma_f64 v[56:57], v[30:31], s[40:41], -v[56:57]
	v_add_f64 v[52:53], v[52:53], v[64:65]
	v_mul_f64 v[64:65], v[32:33], s[40:41]
	v_add_f64 v[56:57], v[56:57], v[96:97]
	v_mul_f64 v[96:97], v[34:35], s[28:29]
	v_add_f64 v[54:55], v[54:55], v[66:67]
	v_add_f64 v[58:59], v[58:59], v[98:99]
	v_fma_f64 v[66:67], s[38:39], v[28:29], v[64:65]
	v_fmac_f64_e32 v[64:65], s[42:43], v[28:29]
	v_fma_f64 v[98:99], s[20:21], v[30:31], v[96:97]
	v_fma_f64 v[96:97], v[30:31], s[20:21], -v[96:97]
	v_mul_f64 v[34:35], v[34:35], s[26:27]
	v_add_f64 v[64:65], v[64:65], v[100:101]
	v_mul_f64 v[100:101], v[32:33], s[20:21]
	v_add_f64 v[96:97], v[96:97], v[104:105]
	v_fma_f64 v[104:105], s[24:25], v[30:31], v[34:35]
	v_mul_f64 v[32:33], v[32:33], s[24:25]
	v_fma_f64 v[30:31], v[30:31], s[24:25], -v[34:35]
	v_add_f64 v[98:99], v[98:99], v[106:107]
	v_fma_f64 v[106:107], s[22:23], v[28:29], v[32:33]
	v_add_f64 v[0:1], v[30:31], v[0:1]
	v_fmac_f64_e32 v[32:33], s[26:27], v[28:29]
	v_add_f64 v[30:31], v[40:41], v[26:27]
	v_add_f64 v[26:27], v[40:41], -v[26:27]
	v_add_f64 v[66:67], v[66:67], v[102:103]
	v_fma_f64 v[102:103], s[0:1], v[28:29], v[100:101]
	v_fmac_f64_e32 v[100:101], s[28:29], v[28:29]
	v_add_f64 v[2:3], v[32:33], v[2:3]
	v_add_f64 v[28:29], v[38:39], v[24:25]
	v_add_f64 v[24:25], v[38:39], -v[24:25]
	v_mul_f64 v[32:33], v[26:27], s[0:1]
	v_mul_f64 v[38:39], v[30:31], s[20:21]
	v_fma_f64 v[34:35], s[20:21], v[28:29], v[32:33]
	v_fma_f64 v[40:41], s[28:29], v[24:25], v[38:39]
	v_fma_f64 v[32:33], v[28:29], s[20:21], -v[32:33]
	v_fmac_f64_e32 v[38:39], s[0:1], v[24:25]
	v_add_f64 v[32:33], v[32:33], v[36:37]
	v_add_f64 v[36:37], v[38:39], v[44:45]
	v_mul_f64 v[38:39], v[26:27], s[42:43]
	v_add_f64 v[34:35], v[34:35], v[42:43]
	v_fma_f64 v[42:43], s[40:41], v[28:29], v[38:39]
	v_fma_f64 v[38:39], v[28:29], s[40:41], -v[38:39]
	v_add_f64 v[38:39], v[38:39], v[46:47]
	v_mul_f64 v[46:47], v[26:27], s[18:19]
	v_add_f64 v[42:43], v[42:43], v[50:51]
	v_mul_f64 v[44:45], v[30:31], s[40:41]
	v_fma_f64 v[50:51], s[16:17], v[28:29], v[46:47]
	v_fma_f64 v[46:47], v[28:29], s[16:17], -v[46:47]
	v_add_f64 v[40:41], v[40:41], v[48:49]
	v_fma_f64 v[48:49], s[38:39], v[24:25], v[44:45]
	v_fmac_f64_e32 v[44:45], s[42:43], v[24:25]
	v_add_f64 v[46:47], v[46:47], v[56:57]
	v_mul_f64 v[56:57], v[26:27], s[22:23]
	v_add_f64 v[44:45], v[44:45], v[52:53]
	v_add_f64 v[50:51], v[50:51], v[58:59]
	v_mul_f64 v[52:53], v[30:31], s[16:17]
	v_fma_f64 v[58:59], s[24:25], v[28:29], v[56:57]
	v_fma_f64 v[56:57], v[28:29], s[24:25], -v[56:57]
	v_mul_f64 v[26:27], v[26:27], s[30:31]
	v_add_f64 v[48:49], v[48:49], v[54:55]
	v_fma_f64 v[54:55], s[6:7], v[24:25], v[52:53]
	v_fmac_f64_e32 v[52:53], s[18:19], v[24:25]
	v_add_f64 v[56:57], v[56:57], v[96:97]
	v_fma_f64 v[96:97], s[34:35], v[28:29], v[26:27]
	v_fma_f64 v[26:27], v[28:29], s[34:35], -v[26:27]
	v_add_f64 v[52:53], v[52:53], v[64:65]
	v_mul_f64 v[64:65], v[30:31], s[24:25]
	v_mul_f64 v[30:31], v[30:31], s[34:35]
	v_add_f64 v[0:1], v[26:27], v[0:1]
	v_add_f64 v[26:27], v[18:19], v[22:23]
	v_add_f64 v[18:19], v[18:19], -v[22:23]
	v_add_f64 v[54:55], v[54:55], v[66:67]
	v_add_f64 v[58:59], v[58:59], v[98:99]
	v_fma_f64 v[66:67], s[26:27], v[24:25], v[64:65]
	v_fmac_f64_e32 v[64:65], s[22:23], v[24:25]
	v_fma_f64 v[98:99], s[36:37], v[24:25], v[30:31]
	v_fmac_f64_e32 v[30:31], s[30:31], v[24:25]
	v_add_f64 v[24:25], v[16:17], v[20:21]
	v_add_f64 v[16:17], v[16:17], -v[20:21]
	v_mul_f64 v[20:21], v[18:19], s[30:31]
	v_fma_f64 v[22:23], s[34:35], v[24:25], v[20:21]
	v_mul_f64 v[28:29], v[26:27], s[34:35]
	v_fma_f64 v[20:21], v[24:25], s[34:35], -v[20:21]
	v_add_f64 v[2:3], v[30:31], v[2:3]
	v_fma_f64 v[30:31], s[36:37], v[16:17], v[28:29]
	v_add_f64 v[20:21], v[20:21], v[32:33]
	v_fmac_f64_e32 v[28:29], s[30:31], v[16:17]
	v_mul_f64 v[32:33], v[18:19], s[28:29]
	v_add_f64 v[22:23], v[22:23], v[34:35]
	v_add_f64 v[28:29], v[28:29], v[36:37]
	v_fma_f64 v[34:35], s[20:21], v[24:25], v[32:33]
	v_mul_f64 v[36:37], v[26:27], s[20:21]
	v_fma_f64 v[32:33], v[24:25], s[20:21], -v[32:33]
	v_add_f64 v[30:31], v[30:31], v[40:41]
	v_fma_f64 v[40:41], s[0:1], v[16:17], v[36:37]
	v_add_f64 v[32:33], v[32:33], v[38:39]
	v_fmac_f64_e32 v[36:37], s[28:29], v[16:17]
	v_mul_f64 v[38:39], v[18:19], s[22:23]
	v_add_f64 v[34:35], v[34:35], v[42:43]
	v_add_f64 v[36:37], v[36:37], v[44:45]
	;; [unrolled: 10-line block ×3, first 2 shown]
	v_add_f64 v[104:105], v[104:105], v[112:113]
	v_add_f64 v[106:107], v[106:107], v[114:115]
	;; [unrolled: 1-line block ×4, first 2 shown]
	v_fma_f64 v[50:51], s[40:41], v[24:25], v[46:47]
	v_mul_f64 v[52:53], v[26:27], s[40:41]
	v_fma_f64 v[46:47], v[24:25], s[40:41], -v[46:47]
	v_mul_f64 v[18:19], v[18:19], s[18:19]
	v_mul_f64 v[26:27], v[26:27], s[16:17]
	v_add_f64 v[66:67], v[66:67], v[102:103]
	v_add_f64 v[64:65], v[64:65], v[100:101]
	;; [unrolled: 1-line block ×6, first 2 shown]
	v_fma_f64 v[54:55], s[42:43], v[16:17], v[52:53]
	v_add_f64 v[46:47], v[46:47], v[56:57]
	v_fmac_f64_e32 v[52:53], s[38:39], v[16:17]
	v_fma_f64 v[56:57], s[16:17], v[24:25], v[18:19]
	v_fma_f64 v[58:59], s[6:7], v[16:17], v[26:27]
	v_fma_f64 v[18:19], v[24:25], s[16:17], -v[18:19]
	v_add_f64 v[102:103], v[10:11], -v[14:15]
	v_add_f64 v[52:53], v[52:53], v[64:65]
	v_add_f64 v[56:57], v[56:57], v[96:97]
	v_add_f64 v[58:59], v[58:59], v[98:99]
	v_add_f64 v[64:65], v[18:19], v[0:1]
	v_fmac_f64_e32 v[26:27], s[18:19], v[16:17]
	v_add_f64 v[96:97], v[8:9], v[12:13]
	v_add_f64 v[98:99], v[10:11], v[14:15]
	v_mul_f64 v[0:1], v[102:103], s[38:39]
	v_add_f64 v[54:55], v[54:55], v[66:67]
	v_add_f64 v[66:67], v[26:27], v[2:3]
	v_add_f64 v[100:101], v[8:9], -v[12:13]
	v_fma_f64 v[2:3], s[40:41], v[96:97], v[0:1]
	v_fma_f64 v[0:1], v[96:97], s[40:41], -v[0:1]
	v_mul_f64 v[16:17], v[102:103], s[26:27]
	v_mul_f64 v[18:19], v[98:99], s[24:25]
	;; [unrolled: 1-line block ×3, first 2 shown]
	v_add_f64 v[8:9], v[2:3], v[22:23]
	v_mul_f64 v[2:3], v[98:99], s[40:41]
	v_add_f64 v[0:1], v[0:1], v[20:21]
	v_fma_f64 v[12:13], s[24:25], v[96:97], v[16:17]
	v_fma_f64 v[14:15], s[22:23], v[100:101], v[18:19]
	v_fma_f64 v[16:17], v[96:97], s[24:25], -v[16:17]
	v_fma_f64 v[20:21], s[34:35], v[96:97], v[24:25]
	v_fma_f64 v[10:11], s[42:43], v[100:101], v[2:3]
	v_fmac_f64_e32 v[2:3], s[38:39], v[100:101]
	v_add_f64 v[12:13], v[12:13], v[34:35]
	v_add_f64 v[14:15], v[14:15], v[40:41]
	;; [unrolled: 1-line block ×3, first 2 shown]
	v_fmac_f64_e32 v[18:19], s[26:27], v[100:101]
	v_add_f64 v[20:21], v[20:21], v[42:43]
	v_mul_f64 v[26:27], v[98:99], s[34:35]
	v_fma_f64 v[24:25], v[96:97], s[34:35], -v[24:25]
	v_mul_f64 v[32:33], v[102:103], s[18:19]
	v_mul_f64 v[34:35], v[98:99], s[16:17]
	;; [unrolled: 1-line block ×4, first 2 shown]
	v_add_f64 v[10:11], v[10:11], v[30:31]
	v_add_f64 v[2:3], v[2:3], v[28:29]
	;; [unrolled: 1-line block ×3, first 2 shown]
	v_fma_f64 v[22:23], s[36:37], v[100:101], v[26:27]
	v_add_f64 v[24:25], v[24:25], v[38:39]
	v_fmac_f64_e32 v[26:27], s[30:31], v[100:101]
	v_fma_f64 v[28:29], s[16:17], v[96:97], v[32:33]
	v_fma_f64 v[30:31], s[6:7], v[100:101], v[34:35]
	v_fma_f64 v[32:33], v[96:97], s[16:17], -v[32:33]
	v_fmac_f64_e32 v[34:35], s[18:19], v[100:101]
	v_fma_f64 v[36:37], s[20:21], v[96:97], v[40:41]
	v_fma_f64 v[38:39], s[28:29], v[100:101], v[42:43]
	v_fma_f64 v[40:41], v[96:97], s[20:21], -v[40:41]
	v_fmac_f64_e32 v[42:43], s[0:1], v[100:101]
	v_add_f64 v[26:27], v[26:27], v[44:45]
	v_add_f64 v[28:29], v[28:29], v[50:51]
	;; [unrolled: 1-line block ×10, first 2 shown]
	s_barrier
	ds_write_b128 v61, v[4:7]
	ds_write_b128 v61, v[8:11] offset:272
	ds_write_b128 v61, v[12:15] offset:544
	;; [unrolled: 1-line block ×10, first 2 shown]
	s_waitcnt lgkmcnt(0)
	s_barrier
	ds_read_b128 v[24:27], v60
	ds_read_b128 v[4:7], v60 offset:1360
	ds_read_b128 v[56:59], v60 offset:2992
	;; [unrolled: 1-line block ×9, first 2 shown]
	v_add_u32_e32 v8, 0x550, v63
	s_and_saveexec_b64 s[0:1], s[2:3]
	s_cbranch_execz .LBB0_19
; %bb.18:
	ds_read_b128 v[0:3], v60 offset:2720
	ds_read_b128 v[168:171], v60 offset:5712
	;; [unrolled: 1-line block ×5, first 2 shown]
.LBB0_19:
	s_or_b64 exec, exec, s[0:1]
	s_waitcnt lgkmcnt(7)
	v_mul_f64 v[20:21], v[78:79], v[58:59]
	v_mul_f64 v[10:11], v[78:79], v[56:57]
	v_fmac_f64_e32 v[20:21], v[76:77], v[56:57]
	v_fma_f64 v[22:23], v[76:77], v[58:59], -v[10:11]
	s_waitcnt lgkmcnt(5)
	v_mul_f64 v[56:57], v[74:75], v[54:55]
	v_mul_f64 v[10:11], v[74:75], v[52:53]
	v_accvgpr_read_b32 v12, a62
	v_fmac_f64_e32 v[56:57], v[72:73], v[52:53]
	v_fma_f64 v[52:53], v[72:73], v[54:55], -v[10:11]
	s_waitcnt lgkmcnt(3)
	v_mul_f64 v[54:55], v[70:71], v[50:51]
	v_mul_f64 v[10:11], v[70:71], v[48:49]
	v_accvgpr_read_b32 v14, a64
	v_accvgpr_read_b32 v15, a65
	v_fmac_f64_e32 v[54:55], v[68:69], v[48:49]
	v_fma_f64 v[48:49], v[68:69], v[50:51], -v[10:11]
	v_accvgpr_read_b32 v13, a63
	s_waitcnt lgkmcnt(1)
	v_mul_f64 v[50:51], v[14:15], v[46:47]
	v_mul_f64 v[10:11], v[14:15], v[44:45]
	v_fmac_f64_e32 v[50:51], v[12:13], v[44:45]
	v_fma_f64 v[44:45], v[12:13], v[46:47], -v[10:11]
	v_mul_f64 v[10:11], v[94:95], v[40:41]
	v_fma_f64 v[58:59], v[92:93], v[42:43], -v[10:11]
	v_mul_f64 v[10:11], v[90:91], v[36:37]
	;; [unrolled: 2-line block ×3, first 2 shown]
	v_add_f64 v[12:13], v[56:57], v[54:55]
	s_mov_b32 s0, 0x134454ff
	v_mul_f64 v[46:47], v[94:95], v[42:43]
	v_fma_f64 v[68:69], v[84:85], v[34:35], -v[10:11]
	s_waitcnt lgkmcnt(0)
	v_mul_f64 v[42:43], v[82:83], v[30:31]
	v_mul_f64 v[10:11], v[82:83], v[28:29]
	v_fma_f64 v[14:15], -0.5, v[12:13], v[24:25]
	v_add_f64 v[12:13], v[22:23], -v[44:45]
	s_mov_b32 s1, 0xbfee6f0e
	s_mov_b32 s6, 0x4755a5e
	;; [unrolled: 1-line block ×4, first 2 shown]
	v_fmac_f64_e32 v[42:43], v[80:81], v[28:29]
	v_fma_f64 v[70:71], v[80:81], v[30:31], -v[10:11]
	v_fma_f64 v[18:19], s[0:1], v[12:13], v[14:15]
	v_add_f64 v[16:17], v[52:53], -v[48:49]
	s_mov_b32 s7, 0xbfe2cf23
	v_add_f64 v[28:29], v[20:21], -v[56:57]
	v_add_f64 v[30:31], v[50:51], -v[54:55]
	s_mov_b32 s16, 0x372fe950
	v_fmac_f64_e32 v[14:15], s[18:19], v[12:13]
	s_mov_b32 s21, 0x3fe2cf23
	s_mov_b32 s20, s6
	v_fmac_f64_e32 v[18:19], s[6:7], v[16:17]
	v_add_f64 v[28:29], v[28:29], v[30:31]
	s_mov_b32 s17, 0x3fd3c6ef
	v_fmac_f64_e32 v[14:15], s[20:21], v[16:17]
	v_fmac_f64_e32 v[18:19], s[16:17], v[28:29]
	;; [unrolled: 1-line block ×3, first 2 shown]
	v_add_f64 v[28:29], v[20:21], v[50:51]
	v_mul_f64 v[66:67], v[86:87], v[34:35]
	v_add_f64 v[10:11], v[24:25], v[20:21]
	v_fmac_f64_e32 v[24:25], -0.5, v[28:29]
	v_fmac_f64_e32 v[66:67], v[84:85], v[32:33]
	v_fma_f64 v[28:29], s[18:19], v[16:17], v[24:25]
	v_add_f64 v[30:31], v[56:57], -v[20:21]
	v_add_f64 v[32:33], v[54:55], -v[50:51]
	v_fmac_f64_e32 v[24:25], s[0:1], v[16:17]
	v_add_f64 v[16:17], v[52:53], v[48:49]
	v_mul_f64 v[60:61], v[90:91], v[38:39]
	v_fmac_f64_e32 v[28:29], s[6:7], v[12:13]
	v_add_f64 v[30:31], v[30:31], v[32:33]
	v_fmac_f64_e32 v[24:25], s[20:21], v[12:13]
	v_fma_f64 v[16:17], -0.5, v[16:17], v[26:27]
	v_add_f64 v[32:33], v[20:21], -v[50:51]
	v_fmac_f64_e32 v[60:61], v[88:89], v[36:37]
	v_fmac_f64_e32 v[28:29], s[16:17], v[30:31]
	;; [unrolled: 1-line block ×3, first 2 shown]
	v_fma_f64 v[20:21], s[18:19], v[32:33], v[16:17]
	v_add_f64 v[34:35], v[56:57], -v[54:55]
	v_add_f64 v[30:31], v[22:23], -v[52:53]
	;; [unrolled: 1-line block ×3, first 2 shown]
	v_fmac_f64_e32 v[16:17], s[0:1], v[32:33]
	v_fmac_f64_e32 v[20:21], s[20:21], v[34:35]
	v_add_f64 v[30:31], v[30:31], v[36:37]
	v_fmac_f64_e32 v[16:17], s[6:7], v[34:35]
	v_fmac_f64_e32 v[20:21], s[16:17], v[30:31]
	;; [unrolled: 1-line block ×3, first 2 shown]
	v_add_f64 v[30:31], v[22:23], v[44:45]
	v_add_f64 v[12:13], v[26:27], v[22:23]
	v_fmac_f64_e32 v[26:27], -0.5, v[30:31]
	v_fma_f64 v[30:31], s[0:1], v[34:35], v[26:27]
	v_add_f64 v[22:23], v[52:53], -v[22:23]
	v_add_f64 v[36:37], v[48:49], -v[44:45]
	v_fmac_f64_e32 v[26:27], s[18:19], v[34:35]
	v_fmac_f64_e32 v[46:47], v[92:93], v[40:41]
	;; [unrolled: 1-line block ×3, first 2 shown]
	v_add_f64 v[22:23], v[22:23], v[36:37]
	v_fmac_f64_e32 v[26:27], s[6:7], v[32:33]
	v_fmac_f64_e32 v[30:31], s[16:17], v[22:23]
	v_fmac_f64_e32 v[26:27], s[16:17], v[22:23]
	v_add_f64 v[22:23], v[4:5], v[46:47]
	v_add_f64 v[22:23], v[22:23], v[60:61]
	;; [unrolled: 1-line block ×7, first 2 shown]
	v_fma_f64 v[36:37], -0.5, v[22:23], v[4:5]
	v_add_f64 v[22:23], v[58:59], -v[70:71]
	v_add_f64 v[12:13], v[12:13], v[44:45]
	v_fma_f64 v[40:41], s[0:1], v[22:23], v[36:37]
	v_add_f64 v[34:35], v[64:65], -v[68:69]
	v_add_f64 v[38:39], v[46:47], -v[60:61]
	;; [unrolled: 1-line block ×3, first 2 shown]
	v_fmac_f64_e32 v[36:37], s[18:19], v[22:23]
	v_fmac_f64_e32 v[40:41], s[6:7], v[34:35]
	v_add_f64 v[38:39], v[38:39], v[44:45]
	v_fmac_f64_e32 v[36:37], s[20:21], v[34:35]
	v_fmac_f64_e32 v[40:41], s[16:17], v[38:39]
	;; [unrolled: 1-line block ×3, first 2 shown]
	v_add_f64 v[38:39], v[46:47], v[42:43]
	v_fmac_f64_e32 v[4:5], -0.5, v[38:39]
	v_fma_f64 v[44:45], s[18:19], v[34:35], v[4:5]
	v_fmac_f64_e32 v[4:5], s[0:1], v[34:35]
	v_fmac_f64_e32 v[44:45], s[6:7], v[22:23]
	v_fmac_f64_e32 v[4:5], s[20:21], v[22:23]
	v_add_f64 v[22:23], v[6:7], v[58:59]
	v_add_f64 v[22:23], v[22:23], v[64:65]
	v_add_f64 v[38:39], v[60:61], -v[46:47]
	v_add_f64 v[48:49], v[66:67], -v[42:43]
	v_add_f64 v[22:23], v[22:23], v[68:69]
	v_add_f64 v[10:11], v[10:11], v[56:57]
	;; [unrolled: 1-line block ×6, first 2 shown]
	v_fmac_f64_e32 v[44:45], s[16:17], v[38:39]
	v_fmac_f64_e32 v[4:5], s[16:17], v[38:39]
	v_fma_f64 v[38:39], -0.5, v[22:23], v[6:7]
	v_add_f64 v[22:23], v[46:47], -v[42:43]
	v_add_f64 v[10:11], v[10:11], v[50:51]
	v_fma_f64 v[42:43], s[18:19], v[22:23], v[38:39]
	v_add_f64 v[48:49], v[60:61], -v[66:67]
	v_add_f64 v[46:47], v[58:59], -v[64:65]
	v_add_f64 v[50:51], v[70:71], -v[68:69]
	v_fmac_f64_e32 v[38:39], s[0:1], v[22:23]
	v_fmac_f64_e32 v[42:43], s[20:21], v[48:49]
	v_add_f64 v[46:47], v[46:47], v[50:51]
	v_fmac_f64_e32 v[38:39], s[6:7], v[48:49]
	v_fmac_f64_e32 v[42:43], s[16:17], v[46:47]
	;; [unrolled: 1-line block ×3, first 2 shown]
	v_add_f64 v[46:47], v[58:59], v[70:71]
	v_fmac_f64_e32 v[6:7], -0.5, v[46:47]
	v_fma_f64 v[46:47], s[0:1], v[48:49], v[6:7]
	v_add_f64 v[50:51], v[64:65], -v[58:59]
	v_add_f64 v[52:53], v[68:69], -v[70:71]
	v_fmac_f64_e32 v[6:7], s[18:19], v[48:49]
	v_fmac_f64_e32 v[46:47], s[20:21], v[22:23]
	v_add_f64 v[50:51], v[50:51], v[52:53]
	v_fmac_f64_e32 v[6:7], s[6:7], v[22:23]
	v_fmac_f64_e32 v[46:47], s[16:17], v[50:51]
	;; [unrolled: 1-line block ×3, first 2 shown]
	ds_write_b128 v62, v[10:13]
	ds_write_b128 v62, v[18:21] offset:2992
	ds_write_b128 v62, v[28:31] offset:5984
	;; [unrolled: 1-line block ×9, first 2 shown]
	v_accvgpr_read_b32 v4, a0
	v_accvgpr_read_b32 v5, a1
	v_lshl_add_u32 v4, v5, 4, v4
	s_mov_b64 s[22:23], exec
	s_and_b64 s[2:3], s[22:23], s[2:3]
	v_accvgpr_read_b32 v36, a2
	s_mov_b64 exec, s[2:3]
	s_cbranch_execz .LBB0_21
; %bb.20:
	v_accvgpr_read_b32 v23, a21
	v_accvgpr_read_b32 v29, a17
	;; [unrolled: 1-line block ×8, first 2 shown]
	v_mul_f64 v[6:7], v[22:23], v[160:161]
	v_accvgpr_read_b32 v40, a12
	v_accvgpr_read_b32 v27, a15
	;; [unrolled: 1-line block ×3, first 2 shown]
	v_mul_f64 v[12:13], v[28:29], v[164:165]
	v_accvgpr_read_b32 v34, a8
	v_fma_f64 v[10:11], v[20:21], v[162:163], -v[6:7]
	v_accvgpr_read_b32 v39, a11
	v_accvgpr_read_b32 v38, a10
	v_mul_f64 v[6:7], v[40:41], v[168:169]
	v_fma_f64 v[14:15], v[26:27], v[166:167], -v[12:13]
	v_accvgpr_read_b32 v33, a7
	v_accvgpr_read_b32 v32, a6
	v_mul_f64 v[12:13], v[34:35], v[156:157]
	v_fma_f64 v[6:7], v[38:39], v[170:171], -v[6:7]
	v_fma_f64 v[18:19], v[32:33], v[158:159], -v[12:13]
	v_add_f64 v[8:9], v[10:11], -v[6:7]
	v_add_f64 v[12:13], v[14:15], -v[18:19]
	v_mul_f64 v[22:23], v[22:23], v[162:163]
	v_mul_f64 v[24:25], v[28:29], v[166:167]
	v_add_f64 v[16:17], v[8:9], v[12:13]
	v_fmac_f64_e32 v[22:23], v[20:21], v[160:161]
	v_fmac_f64_e32 v[24:25], v[26:27], v[164:165]
	v_add_f64 v[8:9], v[6:7], v[18:19]
	v_mul_f64 v[28:29], v[40:41], v[170:171]
	v_mul_f64 v[30:31], v[34:35], v[158:159]
	v_add_f64 v[26:27], v[22:23], -v[24:25]
	v_fma_f64 v[8:9], -0.5, v[8:9], v[2:3]
	v_fmac_f64_e32 v[28:29], v[38:39], v[168:169]
	v_fmac_f64_e32 v[30:31], v[32:33], v[156:157]
	v_fma_f64 v[12:13], s[18:19], v[26:27], v[8:9]
	v_add_f64 v[32:33], v[28:29], -v[30:31]
	v_fmac_f64_e32 v[8:9], s[0:1], v[26:27]
	v_fmac_f64_e32 v[12:13], s[6:7], v[32:33]
	;; [unrolled: 1-line block ×5, first 2 shown]
	v_add_f64 v[16:17], v[6:7], -v[10:11]
	v_add_f64 v[20:21], v[18:19], -v[14:15]
	v_add_f64 v[34:35], v[16:17], v[20:21]
	v_add_f64 v[16:17], v[10:11], v[14:15]
	v_fma_f64 v[16:17], -0.5, v[16:17], v[2:3]
	v_fma_f64 v[20:21], s[0:1], v[32:33], v[16:17]
	v_fmac_f64_e32 v[16:17], s[18:19], v[32:33]
	v_fmac_f64_e32 v[20:21], s[6:7], v[26:27]
	v_fmac_f64_e32 v[16:17], s[20:21], v[26:27]
	v_add_f64 v[26:27], v[22:23], -v[28:29]
	v_add_f64 v[32:33], v[24:25], -v[30:31]
	v_add_f64 v[2:3], v[2:3], v[6:7]
	v_add_f64 v[26:27], v[26:27], v[32:33]
	v_add_f64 v[32:33], v[6:7], -v[18:19]
	v_add_f64 v[6:7], v[28:29], v[30:31]
	v_fmac_f64_e32 v[20:21], s[16:17], v[34:35]
	v_fmac_f64_e32 v[16:17], s[16:17], v[34:35]
	v_add_f64 v[2:3], v[2:3], v[10:11]
	v_fma_f64 v[6:7], -0.5, v[6:7], v[0:1]
	v_add_f64 v[34:35], v[10:11], -v[14:15]
	v_add_f64 v[2:3], v[2:3], v[14:15]
	v_fma_f64 v[10:11], s[0:1], v[34:35], v[6:7]
	v_fmac_f64_e32 v[6:7], s[18:19], v[34:35]
	v_add_f64 v[2:3], v[2:3], v[18:19]
	v_fmac_f64_e32 v[10:11], s[20:21], v[32:33]
	v_fmac_f64_e32 v[6:7], s[6:7], v[32:33]
	v_add_f64 v[14:15], v[28:29], -v[22:23]
	v_add_f64 v[18:19], v[30:31], -v[24:25]
	v_fmac_f64_e32 v[10:11], s[16:17], v[26:27]
	v_fmac_f64_e32 v[6:7], s[16:17], v[26:27]
	v_add_f64 v[26:27], v[14:15], v[18:19]
	v_add_f64 v[14:15], v[22:23], v[24:25]
	v_fma_f64 v[14:15], -0.5, v[14:15], v[0:1]
	v_add_f64 v[0:1], v[0:1], v[28:29]
	v_add_f64 v[0:1], v[0:1], v[22:23]
	v_fma_f64 v[18:19], s[18:19], v[32:33], v[14:15]
	v_fmac_f64_e32 v[14:15], s[0:1], v[32:33]
	v_add_f64 v[0:1], v[0:1], v[24:25]
	v_fmac_f64_e32 v[18:19], s[20:21], v[34:35]
	v_fmac_f64_e32 v[14:15], s[6:7], v[34:35]
	v_add_f64 v[0:1], v[0:1], v[30:31]
	v_fmac_f64_e32 v[18:19], s[16:17], v[26:27]
	v_fmac_f64_e32 v[14:15], s[16:17], v[26:27]
	ds_write_b128 v4, v[0:3] offset:2720
	ds_write_b128 v4, v[14:17] offset:5712
	;; [unrolled: 1-line block ×5, first 2 shown]
.LBB0_21:
	s_or_b64 exec, exec, s[22:23]
	s_and_b64 s[0:1], exec, s[4:5]
	v_accvgpr_read_b32 v22, a4
	s_waitcnt lgkmcnt(0)
	s_barrier
	s_mov_b64 exec, s[0:1]
	s_cbranch_execz .LBB0_23
; %bb.22:
	v_accvgpr_read_b32 v20, a0
	global_load_dwordx4 v[0:3], v20, s[12:13]
	v_mad_u64_u32 v[12:13], s[0:1], s10, v22, 0
	ds_read_b128 v[6:9], v62
	v_mad_u64_u32 v[14:15], s[2:3], s8, v36, 0
	v_mov_b32_e32 v16, v13
	v_mov_b32_e32 v18, v15
	v_mad_u64_u32 v[16:17], s[2:3], s11, v22, v[16:17]
	v_mov_b32_e32 v10, s14
	v_mov_b32_e32 v11, s15
	;; [unrolled: 3-line block ×3, first 2 shown]
	v_lshl_add_u64 v[10:11], v[12:13], 4, v[10:11]
	s_mov_b32 s0, 0xfa401186
	v_lshl_add_u64 v[18:19], v[14:15], 4, v[10:11]
	s_mov_b32 s1, 0x3f5185e2
	s_mul_i32 s2, s9, 0x370
	v_mov_b32_e32 v21, 0
	s_movk_i32 s3, 0x1000
	s_waitcnt vmcnt(0) lgkmcnt(0)
	v_mul_f64 v[10:11], v[8:9], v[2:3]
	v_mul_f64 v[2:3], v[6:7], v[2:3]
	v_fmac_f64_e32 v[10:11], v[6:7], v[0:1]
	v_fma_f64 v[2:3], v[0:1], v[8:9], -v[2:3]
	v_mul_f64 v[0:1], v[10:11], s[0:1]
	v_mul_f64 v[2:3], v[2:3], s[0:1]
	global_store_dwordx4 v[18:19], v[0:3], off
	global_load_dwordx4 v[6:9], v20, s[12:13] offset:880
	ds_read_b128 v[10:13], v4 offset:880
	ds_read_b128 v[14:17], v4 offset:1760
	v_mov_b32_e32 v2, 0x370
	v_mad_u64_u32 v[0:1], s[4:5], s8, v2, v[18:19]
	v_add_u32_e32 v1, s2, v1
	s_waitcnt vmcnt(0) lgkmcnt(1)
	v_mul_f64 v[18:19], v[12:13], v[8:9]
	v_mul_f64 v[8:9], v[10:11], v[8:9]
	v_fmac_f64_e32 v[18:19], v[10:11], v[6:7]
	v_fma_f64 v[8:9], v[6:7], v[12:13], -v[8:9]
	v_mul_f64 v[6:7], v[18:19], s[0:1]
	v_mul_f64 v[8:9], v[8:9], s[0:1]
	global_store_dwordx4 v[0:1], v[6:9], off
	global_load_dwordx4 v[6:9], v20, s[12:13] offset:1760
	v_mad_u64_u32 v[0:1], s[4:5], s8, v2, v[0:1]
	v_add_u32_e32 v1, s2, v1
	v_mad_u64_u32 v[18:19], s[4:5], s8, v2, v[0:1]
	v_add_u32_e32 v19, s2, v19
	s_waitcnt vmcnt(0) lgkmcnt(0)
	v_mul_f64 v[10:11], v[16:17], v[8:9]
	v_mul_f64 v[8:9], v[14:15], v[8:9]
	v_fmac_f64_e32 v[10:11], v[14:15], v[6:7]
	v_fma_f64 v[8:9], v[6:7], v[16:17], -v[8:9]
	v_mul_f64 v[6:7], v[10:11], s[0:1]
	v_mul_f64 v[8:9], v[8:9], s[0:1]
	global_store_dwordx4 v[0:1], v[6:9], off
	global_load_dwordx4 v[6:9], v20, s[12:13] offset:2640
	ds_read_b128 v[10:13], v4 offset:2640
	ds_read_b128 v[14:17], v4 offset:3520
	s_waitcnt vmcnt(0) lgkmcnt(1)
	v_mul_f64 v[0:1], v[12:13], v[8:9]
	v_mul_f64 v[8:9], v[10:11], v[8:9]
	v_fmac_f64_e32 v[0:1], v[10:11], v[6:7]
	v_fma_f64 v[8:9], v[6:7], v[12:13], -v[8:9]
	v_mul_f64 v[6:7], v[0:1], s[0:1]
	v_mul_f64 v[8:9], v[8:9], s[0:1]
	global_store_dwordx4 v[18:19], v[6:9], off
	global_load_dwordx4 v[6:9], v20, s[12:13] offset:3520
	v_lshl_add_u64 v[0:1], s[12:13], 0, v[20:21]
	v_mad_u64_u32 v[18:19], s[4:5], s8, v2, v[18:19]
	v_add_co_u32_e32 v20, vcc, s3, v0
	v_add_u32_e32 v19, s2, v19
	s_nop 0
	v_addc_co_u32_e32 v21, vcc, 0, v1, vcc
	s_movk_i32 s3, 0x2000
	s_waitcnt vmcnt(0) lgkmcnt(0)
	v_mul_f64 v[10:11], v[16:17], v[8:9]
	v_mul_f64 v[8:9], v[14:15], v[8:9]
	v_fmac_f64_e32 v[10:11], v[14:15], v[6:7]
	v_fma_f64 v[8:9], v[6:7], v[16:17], -v[8:9]
	v_mul_f64 v[6:7], v[10:11], s[0:1]
	v_mul_f64 v[8:9], v[8:9], s[0:1]
	global_store_dwordx4 v[18:19], v[6:9], off
	global_load_dwordx4 v[6:9], v[20:21], off offset:304
	ds_read_b128 v[10:13], v4 offset:4400
	ds_read_b128 v[14:17], v4 offset:5280
	v_mad_u64_u32 v[18:19], s[4:5], s8, v2, v[18:19]
	v_add_u32_e32 v19, s2, v19
	s_waitcnt vmcnt(0) lgkmcnt(1)
	v_mul_f64 v[22:23], v[12:13], v[8:9]
	v_mul_f64 v[8:9], v[10:11], v[8:9]
	v_fmac_f64_e32 v[22:23], v[10:11], v[6:7]
	v_fma_f64 v[8:9], v[6:7], v[12:13], -v[8:9]
	v_mul_f64 v[6:7], v[22:23], s[0:1]
	v_mul_f64 v[8:9], v[8:9], s[0:1]
	global_store_dwordx4 v[18:19], v[6:9], off
	global_load_dwordx4 v[6:9], v[20:21], off offset:1184
	v_mad_u64_u32 v[18:19], s[4:5], s8, v2, v[18:19]
	v_add_u32_e32 v19, s2, v19
	s_waitcnt vmcnt(0) lgkmcnt(0)
	v_mul_f64 v[10:11], v[16:17], v[8:9]
	v_mul_f64 v[8:9], v[14:15], v[8:9]
	v_fmac_f64_e32 v[10:11], v[14:15], v[6:7]
	v_fma_f64 v[8:9], v[6:7], v[16:17], -v[8:9]
	v_mul_f64 v[6:7], v[10:11], s[0:1]
	v_mul_f64 v[8:9], v[8:9], s[0:1]
	global_store_dwordx4 v[18:19], v[6:9], off
	global_load_dwordx4 v[6:9], v[20:21], off offset:2064
	ds_read_b128 v[10:13], v4 offset:6160
	ds_read_b128 v[14:17], v4 offset:7040
	v_mad_u64_u32 v[18:19], s[4:5], s8, v2, v[18:19]
	v_add_u32_e32 v19, s2, v19
	s_waitcnt vmcnt(0) lgkmcnt(1)
	v_mul_f64 v[22:23], v[12:13], v[8:9]
	v_mul_f64 v[8:9], v[10:11], v[8:9]
	v_fmac_f64_e32 v[22:23], v[10:11], v[6:7]
	v_fma_f64 v[8:9], v[6:7], v[12:13], -v[8:9]
	v_mul_f64 v[6:7], v[22:23], s[0:1]
	v_mul_f64 v[8:9], v[8:9], s[0:1]
	global_store_dwordx4 v[18:19], v[6:9], off
	global_load_dwordx4 v[6:9], v[20:21], off offset:2944
	v_mad_u64_u32 v[18:19], s[4:5], s8, v2, v[18:19]
	v_add_u32_e32 v19, s2, v19
	s_waitcnt vmcnt(0) lgkmcnt(0)
	v_mul_f64 v[10:11], v[16:17], v[8:9]
	v_mul_f64 v[8:9], v[14:15], v[8:9]
	v_fmac_f64_e32 v[10:11], v[14:15], v[6:7]
	v_fma_f64 v[8:9], v[6:7], v[16:17], -v[8:9]
	v_mul_f64 v[6:7], v[10:11], s[0:1]
	v_mul_f64 v[8:9], v[8:9], s[0:1]
	global_store_dwordx4 v[18:19], v[6:9], off
	global_load_dwordx4 v[6:9], v[20:21], off offset:3824
	ds_read_b128 v[10:13], v4 offset:7920
	ds_read_b128 v[14:17], v4 offset:8800
	v_mad_u64_u32 v[18:19], s[4:5], s8, v2, v[18:19]
	v_add_co_u32_e32 v20, vcc, s3, v0
	v_add_u32_e32 v19, s2, v19
	s_nop 0
	v_addc_co_u32_e32 v21, vcc, 0, v1, vcc
	s_movk_i32 s3, 0x3000
	v_add_co_u32_e32 v0, vcc, s3, v0
	s_waitcnt vmcnt(0) lgkmcnt(1)
	v_mul_f64 v[22:23], v[12:13], v[8:9]
	v_mul_f64 v[8:9], v[10:11], v[8:9]
	v_fmac_f64_e32 v[22:23], v[10:11], v[6:7]
	v_fma_f64 v[8:9], v[6:7], v[12:13], -v[8:9]
	v_mul_f64 v[6:7], v[22:23], s[0:1]
	v_mul_f64 v[8:9], v[8:9], s[0:1]
	global_store_dwordx4 v[18:19], v[6:9], off
	global_load_dwordx4 v[6:9], v[20:21], off offset:608
	v_mad_u64_u32 v[18:19], s[4:5], s8, v2, v[18:19]
	v_add_u32_e32 v19, s2, v19
	v_addc_co_u32_e32 v1, vcc, 0, v1, vcc
	s_waitcnt vmcnt(0) lgkmcnt(0)
	v_mul_f64 v[10:11], v[16:17], v[8:9]
	v_mul_f64 v[8:9], v[14:15], v[8:9]
	v_fmac_f64_e32 v[10:11], v[14:15], v[6:7]
	v_fma_f64 v[8:9], v[6:7], v[16:17], -v[8:9]
	v_mul_f64 v[6:7], v[10:11], s[0:1]
	v_mul_f64 v[8:9], v[8:9], s[0:1]
	global_store_dwordx4 v[18:19], v[6:9], off
	global_load_dwordx4 v[6:9], v[20:21], off offset:1488
	ds_read_b128 v[10:13], v4 offset:9680
	ds_read_b128 v[14:17], v4 offset:10560
	v_mad_u64_u32 v[18:19], s[4:5], s8, v2, v[18:19]
	v_add_u32_e32 v19, s2, v19
	s_waitcnt vmcnt(0) lgkmcnt(1)
	v_mul_f64 v[22:23], v[12:13], v[8:9]
	v_mul_f64 v[8:9], v[10:11], v[8:9]
	v_fmac_f64_e32 v[22:23], v[10:11], v[6:7]
	v_fma_f64 v[8:9], v[6:7], v[12:13], -v[8:9]
	v_mul_f64 v[6:7], v[22:23], s[0:1]
	v_mul_f64 v[8:9], v[8:9], s[0:1]
	global_store_dwordx4 v[18:19], v[6:9], off
	global_load_dwordx4 v[6:9], v[20:21], off offset:2368
	v_mad_u64_u32 v[18:19], s[4:5], s8, v2, v[18:19]
	v_add_u32_e32 v19, s2, v19
	s_waitcnt vmcnt(0) lgkmcnt(0)
	v_mul_f64 v[10:11], v[16:17], v[8:9]
	v_mul_f64 v[8:9], v[14:15], v[8:9]
	v_fmac_f64_e32 v[10:11], v[14:15], v[6:7]
	v_fma_f64 v[8:9], v[6:7], v[16:17], -v[8:9]
	v_mul_f64 v[6:7], v[10:11], s[0:1]
	v_mul_f64 v[8:9], v[8:9], s[0:1]
	global_store_dwordx4 v[18:19], v[6:9], off
	global_load_dwordx4 v[6:9], v[20:21], off offset:3248
	ds_read_b128 v[10:13], v4 offset:11440
	ds_read_b128 v[14:17], v4 offset:12320
	v_mad_u64_u32 v[18:19], s[4:5], s8, v2, v[18:19]
	v_add_u32_e32 v19, s2, v19
	s_waitcnt vmcnt(0) lgkmcnt(1)
	v_mul_f64 v[20:21], v[12:13], v[8:9]
	v_mul_f64 v[8:9], v[10:11], v[8:9]
	v_fmac_f64_e32 v[20:21], v[10:11], v[6:7]
	v_fma_f64 v[8:9], v[6:7], v[12:13], -v[8:9]
	v_mul_f64 v[6:7], v[20:21], s[0:1]
	v_mul_f64 v[8:9], v[8:9], s[0:1]
	global_store_dwordx4 v[18:19], v[6:9], off
	global_load_dwordx4 v[6:9], v[0:1], off offset:32
	v_mad_u64_u32 v[18:19], s[4:5], s8, v2, v[18:19]
	v_add_u32_e32 v19, s2, v19
	;; [unrolled: 24-line block ×3, first 2 shown]
	s_waitcnt vmcnt(0) lgkmcnt(0)
	v_mul_f64 v[0:1], v[16:17], v[6:7]
	v_mul_f64 v[2:3], v[14:15], v[6:7]
	v_fmac_f64_e32 v[0:1], v[14:15], v[4:5]
	v_fma_f64 v[2:3], v[4:5], v[16:17], -v[2:3]
	v_mul_f64 v[0:1], v[0:1], s[0:1]
	v_mul_f64 v[2:3], v[2:3], s[0:1]
	global_store_dwordx4 v[8:9], v[0:3], off
.LBB0_23:
	s_endpgm
	.section	.rodata,"a",@progbits
	.p2align	6, 0x0
	.amdhsa_kernel bluestein_single_fwd_len935_dim1_dp_op_CI_CI
		.amdhsa_group_segment_fixed_size 44880
		.amdhsa_private_segment_fixed_size 0
		.amdhsa_kernarg_size 104
		.amdhsa_user_sgpr_count 2
		.amdhsa_user_sgpr_dispatch_ptr 0
		.amdhsa_user_sgpr_queue_ptr 0
		.amdhsa_user_sgpr_kernarg_segment_ptr 1
		.amdhsa_user_sgpr_dispatch_id 0
		.amdhsa_user_sgpr_kernarg_preload_length 0
		.amdhsa_user_sgpr_kernarg_preload_offset 0
		.amdhsa_user_sgpr_private_segment_size 0
		.amdhsa_uses_dynamic_stack 0
		.amdhsa_enable_private_segment 0
		.amdhsa_system_sgpr_workgroup_id_x 1
		.amdhsa_system_sgpr_workgroup_id_y 0
		.amdhsa_system_sgpr_workgroup_id_z 0
		.amdhsa_system_sgpr_workgroup_info 0
		.amdhsa_system_vgpr_workitem_id 0
		.amdhsa_next_free_vgpr 426
		.amdhsa_next_free_sgpr 64
		.amdhsa_accum_offset 256
		.amdhsa_reserve_vcc 1
		.amdhsa_float_round_mode_32 0
		.amdhsa_float_round_mode_16_64 0
		.amdhsa_float_denorm_mode_32 3
		.amdhsa_float_denorm_mode_16_64 3
		.amdhsa_dx10_clamp 1
		.amdhsa_ieee_mode 1
		.amdhsa_fp16_overflow 0
		.amdhsa_tg_split 0
		.amdhsa_exception_fp_ieee_invalid_op 0
		.amdhsa_exception_fp_denorm_src 0
		.amdhsa_exception_fp_ieee_div_zero 0
		.amdhsa_exception_fp_ieee_overflow 0
		.amdhsa_exception_fp_ieee_underflow 0
		.amdhsa_exception_fp_ieee_inexact 0
		.amdhsa_exception_int_div_zero 0
	.end_amdhsa_kernel
	.text
.Lfunc_end0:
	.size	bluestein_single_fwd_len935_dim1_dp_op_CI_CI, .Lfunc_end0-bluestein_single_fwd_len935_dim1_dp_op_CI_CI
                                        ; -- End function
	.section	.AMDGPU.csdata,"",@progbits
; Kernel info:
; codeLenInByte = 32704
; NumSgprs: 70
; NumVgprs: 256
; NumAgprs: 170
; TotalNumVgprs: 426
; ScratchSize: 0
; MemoryBound: 0
; FloatMode: 240
; IeeeMode: 1
; LDSByteSize: 44880 bytes/workgroup (compile time only)
; SGPRBlocks: 8
; VGPRBlocks: 53
; NumSGPRsForWavesPerEU: 70
; NumVGPRsForWavesPerEU: 426
; AccumOffset: 256
; Occupancy: 1
; WaveLimiterHint : 1
; COMPUTE_PGM_RSRC2:SCRATCH_EN: 0
; COMPUTE_PGM_RSRC2:USER_SGPR: 2
; COMPUTE_PGM_RSRC2:TRAP_HANDLER: 0
; COMPUTE_PGM_RSRC2:TGID_X_EN: 1
; COMPUTE_PGM_RSRC2:TGID_Y_EN: 0
; COMPUTE_PGM_RSRC2:TGID_Z_EN: 0
; COMPUTE_PGM_RSRC2:TIDIG_COMP_CNT: 0
; COMPUTE_PGM_RSRC3_GFX90A:ACCUM_OFFSET: 63
; COMPUTE_PGM_RSRC3_GFX90A:TG_SPLIT: 0
	.text
	.p2alignl 6, 3212836864
	.fill 256, 4, 3212836864
	.type	__hip_cuid_a4e590f88ed51000,@object ; @__hip_cuid_a4e590f88ed51000
	.section	.bss,"aw",@nobits
	.globl	__hip_cuid_a4e590f88ed51000
__hip_cuid_a4e590f88ed51000:
	.byte	0                               ; 0x0
	.size	__hip_cuid_a4e590f88ed51000, 1

	.ident	"AMD clang version 19.0.0git (https://github.com/RadeonOpenCompute/llvm-project roc-6.4.0 25133 c7fe45cf4b819c5991fe208aaa96edf142730f1d)"
	.section	".note.GNU-stack","",@progbits
	.addrsig
	.addrsig_sym __hip_cuid_a4e590f88ed51000
	.amdgpu_metadata
---
amdhsa.kernels:
  - .agpr_count:     170
    .args:
      - .actual_access:  read_only
        .address_space:  global
        .offset:         0
        .size:           8
        .value_kind:     global_buffer
      - .actual_access:  read_only
        .address_space:  global
        .offset:         8
        .size:           8
        .value_kind:     global_buffer
      - .actual_access:  read_only
        .address_space:  global
        .offset:         16
        .size:           8
        .value_kind:     global_buffer
      - .actual_access:  read_only
        .address_space:  global
        .offset:         24
        .size:           8
        .value_kind:     global_buffer
      - .actual_access:  read_only
        .address_space:  global
        .offset:         32
        .size:           8
        .value_kind:     global_buffer
      - .offset:         40
        .size:           8
        .value_kind:     by_value
      - .address_space:  global
        .offset:         48
        .size:           8
        .value_kind:     global_buffer
      - .address_space:  global
        .offset:         56
        .size:           8
        .value_kind:     global_buffer
      - .address_space:  global
        .offset:         64
        .size:           8
        .value_kind:     global_buffer
      - .address_space:  global
        .offset:         72
        .size:           8
        .value_kind:     global_buffer
      - .offset:         80
        .size:           4
        .value_kind:     by_value
      - .address_space:  global
        .offset:         88
        .size:           8
        .value_kind:     global_buffer
      - .address_space:  global
        .offset:         96
        .size:           8
        .value_kind:     global_buffer
    .group_segment_fixed_size: 44880
    .kernarg_segment_align: 8
    .kernarg_segment_size: 104
    .language:       OpenCL C
    .language_version:
      - 2
      - 0
    .max_flat_workgroup_size: 255
    .name:           bluestein_single_fwd_len935_dim1_dp_op_CI_CI
    .private_segment_fixed_size: 0
    .sgpr_count:     70
    .sgpr_spill_count: 0
    .symbol:         bluestein_single_fwd_len935_dim1_dp_op_CI_CI.kd
    .uniform_work_group_size: 1
    .uses_dynamic_stack: false
    .vgpr_count:     426
    .vgpr_spill_count: 0
    .wavefront_size: 64
amdhsa.target:   amdgcn-amd-amdhsa--gfx950
amdhsa.version:
  - 1
  - 2
...

	.end_amdgpu_metadata
